;; amdgpu-corpus repo=ROCm/aiter kind=harvested arch=n/a opt=n/a

/root/src/amdgpu-assembly/repos/ROCm__aiter/hsa/gfx950/fmoe/gelu/fmoe_bf16_blockscaleBf16_g1u1_flat_vs_gelu_1x128.co:	file format elf64-amdgpu

Disassembly of section .text:

0000000000002e00 <_ZN5aiter48fmoe_bf16_blockscaleBf16_g1u1_flat_vs_gelu_1x128E>:
	s_and_b32 s1, s1, 0xffff                                   // 000000002E00: 8601FF01 0000FFFF
	s_load_dwordx2 s[8:9], s[0:1], 0x0                         // 000000002E08: C0060200 00000000
	s_load_dwordx2 s[20:21], s[0:1], 0x10                      // 000000002E10: C0060500 00000010
	s_load_dwordx2 s[24:25], s[0:1], 0x20                      // 000000002E18: C0060600 00000020
	s_load_dwordx2 s[50:51], s[0:1], 0x30                      // 000000002E20: C0060C80 00000030
	s_load_dwordx2 s[12:13], s[0:1], 0x40                      // 000000002E28: C0060300 00000040
	s_load_dwordx2 s[28:29], s[0:1], 0x50                      // 000000002E30: C0060700 00000050
	s_load_dwordx2 s[32:33], s[0:1], 0x60                      // 000000002E38: C0060800 00000060
	s_load_dwordx2 s[16:17], s[0:1], 0x70                      // 000000002E40: C0060400 00000070
	s_load_dwordx2 s[36:37], s[0:1], 0x80                      // 000000002E48: C0060900 00000080
	s_load_dwordx2 s[44:45], s[0:1], 0x90                      // 000000002E50: C0060B00 00000090
	s_load_dwordx2 s[40:41], s[0:1], 0xa0                      // 000000002E58: C0060A00 000000A0
	s_load_dwordx2 s[46:47], s[0:1], 0xb0                      // 000000002E60: C0060B80 000000B0
	s_load_dword s64, s[0:1], 0xc0                             // 000000002E68: C0021000 000000C0
	s_load_dword s65, s[0:1], 0xd0                             // 000000002E70: C0021040 000000D0
	s_load_dword s66, s[0:1], 0xe0                             // 000000002E78: C0021080 000000E0
	s_load_dword s67, s[0:1], 0xf0                             // 000000002E80: C00210C0 000000F0
	s_load_dword s68, s[0:1], 0x100                            // 000000002E88: C0021100 00000100
	s_load_dword s69, s[0:1], 0x110                            // 000000002E90: C0021140 00000110
	s_load_dword s70, s[0:1], 0x120                            // 000000002E98: C0021180 00000120
	s_load_dword s71, s[0:1], 0x130                            // 000000002EA0: C00211C0 00000130
	s_load_dword s72, s[0:1], 0x140                            // 000000002EA8: C0021200 00000140
	s_load_dword s73, s[0:1], 0x150                            // 000000002EB0: C0021240 00000150
	s_load_dword s74, s[0:1], 0x160                            // 000000002EB8: C0021280 00000160
	s_load_dword s75, s[0:1], 0x170                            // 000000002EC0: C00212C0 00000170
	s_load_dword s76, s[0:1], 0x180                            // 000000002EC8: C0021300 00000180
	s_load_dword s89, s[0:1], 0x190                            // 000000002ED0: C0021640 00000190
	v_lshrrev_b32_e32 v1, 10, v0                               // 000000002ED8: 2002008A
	v_lshrrev_b32_e32 v2, 10, v1                               // 000000002EDC: 2004028A
	v_and_b32_e32 v2, 0x3ff, v2                                // 000000002EE0: 260404FF 000003FF
	v_and_b32_e32 v1, 0x3ff, v1                                // 000000002EE8: 260202FF 000003FF
	v_and_b32_e32 v0, 0x3ff, v0                                // 000000002EF0: 260000FF 000003FF
	v_lshrrev_b32_e32 v3, 6, v0                                // 000000002EF8: 20060086
	v_and_b32_e32 v0, 63, v0                                   // 000000002EFC: 260000BF
	s_mov_b32 s96, s2                                          // 000000002F00: BEE00002
	s_mov_b32 s97, s3                                          // 000000002F04: BEE10003
	s_mov_b32 s2, s4                                           // 000000002F08: BE820004
	s_mov_b32 s3, s5                                           // 000000002F0C: BE830005
	s_mov_b32 s4, s6                                           // 000000002F10: BE840006
	s_mov_b32 s2, s2                                           // 000000002F14: BE820002
	s_mov_b32 s3, s3                                           // 000000002F18: BE830003
	s_mov_b32 s4, s4                                           // 000000002F1C: BE840004
	v_readfirstlane_b32 s7, v3                                 // 000000002F20: 7E0E0503
	s_waitcnt lgkmcnt(0)                                       // 000000002F24: BF8CC07F
	s_mul_i32 s86, s4, s89                                     // 000000002F28: 92565904
	s_add_u32 s86, s86, s3                                     // 000000002F2C: 80560356
	s_lshl_b32 s86, s86, 2                                     // 000000002F30: 8E568256
	s_load_dword s5, s[44:45], s86                             // 000000002F34: C0000156 00000056
	s_load_dword s88, s[40:41], s86                            // 000000002F3C: C0001614 00000056
	s_and_b32 s45, s45, 0xffff                                 // 000000002F44: 862DFF2D 0000FFFF
	s_and_b32 s47, s47, 0xffff                                 // 000000002F4C: 862FFF2F 0000FFFF
	s_and_b32 s9, s9, 0xffff                                   // 000000002F54: 8609FF09 0000FFFF
	s_mul_i32 s60, s66, s68                                    // 000000002F5C: 923C4442
	s_mul_i32 s61, s66, 4                                      // 000000002F60: 923D8442
	s_mov_b32 s22, s60                                         // 000000002F64: BE96003C
	s_mov_b32 s26, -16                                         // 000000002F68: BE9A00D0
	s_mov_b32 s14, -16                                         // 000000002F6C: BE8E00D0
	s_mov_b32 s42, -16                                         // 000000002F70: BEAA00D0
	s_mov_b32 s30, -16                                         // 000000002F74: BE9E00D0
	s_mov_b32 s34, -16                                         // 000000002F78: BEA200D0
	s_mov_b32 s38, -16                                         // 000000002F7C: BEA600D0
	s_mov_b32 s18, -16                                         // 000000002F80: BE9200D0
	s_mul_i32 s60, s66, s71                                    // 000000002F84: 923C4742
	s_mov_b32 s10, s60                                         // 000000002F88: BE8A003C
	s_mov_b32 s23, 0x20000                                     // 000000002F8C: BE9700FF 00020000
	s_mov_b32 s27, 0x20000                                     // 000000002F94: BE9B00FF 00020000
	s_mov_b32 s15, 0x20000                                     // 000000002F9C: BE8F00FF 00020000
	s_mov_b32 s43, 0x20000                                     // 000000002FA4: BEAB00FF 00020000
	s_mov_b32 s31, 0x20000                                     // 000000002FAC: BE9F00FF 00020000
	s_mov_b32 s35, 0x20000                                     // 000000002FB4: BEA300FF 00020000
	s_mov_b32 s39, 0x20000                                     // 000000002FBC: BEA700FF 00020000
	s_mov_b32 s19, 0x20000                                     // 000000002FC4: BE9300FF 00020000
	s_mov_b32 s11, 0x20000                                     // 000000002FCC: BE8B00FF 00020000
	s_and_b32 s21, s21, 0xffff                                 // 000000002FD4: 8615FF15 0000FFFF
	s_and_b32 s25, s25, 0xffff                                 // 000000002FDC: 8619FF19 0000FFFF
	s_and_b32 s13, s13, 0xffff                                 // 000000002FE4: 860DFF0D 0000FFFF
	s_and_b32 s41, s41, 0xffff                                 // 000000002FEC: 8629FF29 0000FFFF
	s_and_b32 s29, s29, 0xffff                                 // 000000002FF4: 861DFF1D 0000FFFF
	s_and_b32 s33, s33, 0xffff                                 // 000000002FFC: 8621FF21 0000FFFF
	s_and_b32 s37, s37, 0xffff                                 // 000000003004: 8625FF25 0000FFFF
	s_and_b32 s17, s17, 0xffff                                 // 00000000300C: 8611FF11 0000FFFF
	s_or_b32 s21, s21, 0x40000                                 // 000000003014: 8715FF15 00040000
	s_or_b32 s25, s25, 0x40000                                 // 00000000301C: 8719FF19 00040000
	s_or_b32 s13, s13, 0x40000                                 // 000000003024: 870DFF0D 00040000
	s_or_b32 s41, s41, 0x40000                                 // 00000000302C: 8729FF29 00040000
	s_or_b32 s29, s29, 0x40000                                 // 000000003034: 871DFF1D 00040000
	s_or_b32 s33, s33, 0x40000                                 // 00000000303C: 8721FF21 00040000
	s_or_b32 s37, s37, 0x40000                                 // 000000003044: 8725FF25 00040000
	s_or_b32 s17, s17, 0x40000                                 // 00000000304C: 8711FF11 00040000
	s_mov_b32 s46, -16                                         // 000000003054: BEAE00D0
	s_mov_b32 s47, 0x20000                                     // 000000003058: BEAF00FF 00020000
	s_or_b32 s45, s45, 0x40000                                 // 000000003060: 872DFF2D 00040000
	v_accvgpr_write_b32 a191, 0                                // 000000003068: D3D940BF 18000080
	v_mov_b32_e32 v159, 0                                      // 000000003070: 7F3E0280
	s_mul_i32 s99, s66, s64                                    // 000000003074: 92634042
	s_lshl_b32 s99, s99, 1                                     // 000000003078: 8E638163
	s_cmp_eq_u32 s7, 0                                         // 00000000307C: BF068007
	s_cbranch_scc0 label_00CD                                  // 000000003080: BF84002C
	s_mov_b64 exec, 1                                          // 000000003084: BEFE0181
	v_mov_b32_e32 v160, s99                                    // 000000003088: 7F400263
	global_load_dwordx2 v[168:169], v160, s[8:9] sc0 sc1       // 00000000308C: DE558000 A80800A0
	s_waitcnt vmcnt(0)                                         // 000000003094: BF8C0F70
	v_readfirstlane_b32 s60, v168                              // 000000003098: 7E7805A8
	v_readfirstlane_b32 s61, v169                              // 00000000309C: 7E7A05A9
	s_cmp_eq_u32 s60, s96                                      // 0000000030A0: BF06603C
	s_cbranch_scc0 label_00B2                                  // 0000000030A4: BF840008
	s_mov_b32 s98, 2                                           // 0000000030A8: BEE20082
	s_cmp_eq_u32 s61, 0xdeadc0de                               // 0000000030AC: BF06FF3D DEADC0DE
	s_cbranch_scc1 label_00C6                                  // 0000000030B4: BF850018
	s_mov_b32 s98, 1                                           // 0000000030B8: BEE20081
	s_cmp_eq_u32 s61, 0xdeaddead                               // 0000000030BC: BF06FF3D DEADDEAD
	s_cbranch_scc1 label_00C6                                  // 0000000030C4: BF850014

00000000000030c8 <label_00B2>:
	v_mov_b32_e32 v164, s96                                    // 0000000030C8: 7F480260
	s_mov_b32 s62, 0xdeaddead                                  // 0000000030CC: BEBE00FF DEADDEAD
	v_mov_b32_e32 v165, s62                                    // 0000000030D4: 7F4A023E
	v_mov_b32_e32 v166, v168                                   // 0000000030D8: 7F4C03A8
	v_mov_b32_e32 v167, v169                                   // 0000000030DC: 7F4E03A9
	global_atomic_cmpswap_x2 v[168:169], v160, v[164:167], s[8:9] sc0 sc1// 0000000030E0: DF858000 A808A4A0
	s_waitcnt vmcnt(0)                                         // 0000000030E8: BF8C0F70
	v_readfirstlane_b32 s60, v168                              // 0000000030EC: 7E7805A8
	v_readfirstlane_b32 s61, v166                              // 0000000030F0: 7E7A05A6
	s_cmp_eq_u32 s60, s61                                      // 0000000030F4: BF063D3C
	s_cbranch_scc0 label_00C5                                  // 0000000030F8: BF840006
	v_readfirstlane_b32 s60, v169                              // 0000000030FC: 7E7805A9
	v_readfirstlane_b32 s61, v167                              // 000000003100: 7E7A05A7
	s_cmp_eq_u32 s60, s61                                      // 000000003104: BF063D3C
	s_cbranch_scc0 label_00C5                                  // 000000003108: BF840002
	s_mov_b32 s98, 0                                           // 00000000310C: BEE20080
	s_branch label_00C6                                        // 000000003110: BF820001

0000000000003114 <label_00C5>:
	s_mov_b32 s98, 1                                           // 000000003114: BEE20081

0000000000003118 <label_00C6>:
	v_mov_b32_e32 v160, 0xcb90                                 // 000000003118: 7F4002FF 0000CB90
	v_mov_b32_e32 v164, s98                                    // 000000003120: 7F480262
	ds_write_b32 v160, v164                                    // 000000003124: D81A0000 0000A4A0
	s_waitcnt lgkmcnt(0)                                       // 00000000312C: BF8CC07F
	s_mov_b64 exec, -1                                         // 000000003130: BEFE01C1

0000000000003134 <label_00CD>:
	s_barrier                                                  // 000000003134: BF8A0000
	v_mov_b32_e32 v160, 0xcb90                                 // 000000003138: 7F4002FF 0000CB90
	ds_read_b32 v168, v160                                     // 000000003140: D86C0000 A80000A0
	s_waitcnt lgkmcnt(0)                                       // 000000003148: BF8CC07F
	v_readfirstlane_b32 s98, v168                              // 00000000314C: 7EC405A8
	s_cmp_eq_u32 s98, 0                                        // 000000003150: BF068062
	s_cbranch_scc0 label_00ED                                  // 000000003154: BF840017
	s_mov_b32 s56, s8                                          // 000000003158: BEB80008
	s_mov_b32 s57, s9                                          // 00000000315C: BEB90009
	s_mov_b32 s58, s99                                         // 000000003160: BEBA0063
	s_mov_b32 s59, s11                                         // 000000003164: BEBB000B
	s_lshl_b32 s60, s7, 10                                     // 000000003168: 8E3C8A07
	v_lshlrev_b32_e32 v170, 4, v0                              // 00000000316C: 25540084
	v_add_u32_e32 v170, s60, v170                              // 000000003170: 6955543C
	v_mov_b32_e32 v172, 0                                      // 000000003174: 7F580280
	v_mov_b32_e32 v173, 0                                      // 000000003178: 7F5A0280
	v_mov_b32_e32 v174, 0                                      // 00000000317C: 7F5C0280
	v_mov_b32_e32 v175, 0                                      // 000000003180: 7F5E0280
	s_mul_i32 s61, s66, s64                                    // 000000003184: 923D4042
	s_add_u32 s61, s61, 0x7ff                                  // 000000003188: 803DFF3D 000007FF
	s_lshr_b32 s61, s61, 11                                    // 000000003190: 8F3D8B3D
	s_mov_b32 s60, 0                                           // 000000003194: BEBC0080

0000000000003198 <label_00E6>:
	buffer_store_dwordx4 v[172:175], v170, s[56:59], 0 offen sc0 sc1// 000000003198: E07CD000 800EACAA
	v_add_u32_e32 v170, 0x1000, v170                           // 0000000031A0: 695554FF 00001000
	s_add_u32 s60, s60, 1                                      // 0000000031A8: 803C813C
	s_cmp_lt_u32 s60, s61                                      // 0000000031AC: BF0A3D3C
	s_cbranch_scc1 label_00E6                                  // 0000000031B0: BF85FFF9

00000000000031b4 <label_00ED>:
	s_cmp_eq_u32 s98, 0                                        // 0000000031B4: BF068062
	s_cbranch_scc0 label_00FC                                  // 0000000031B8: BF84000D
	s_waitcnt vmcnt(0)                                         // 0000000031BC: BF8C0F70
	s_cmp_eq_u32 s7, 0                                         // 0000000031C0: BF068007
	s_cbranch_scc0 label_00FB                                  // 0000000031C4: BF840009
	s_mov_b64 exec, 1                                          // 0000000031C8: BEFE0181
	v_mov_b32_e32 v160, s99                                    // 0000000031CC: 7F400263
	v_mov_b32_e32 v164, s96                                    // 0000000031D0: 7F480260
	s_mov_b32 s61, 0xdeadc0de                                  // 0000000031D4: BEBD00FF DEADC0DE
	v_mov_b32_e32 v165, s61                                    // 0000000031DC: 7F4A023D
	global_store_dwordx2 v160, v[164:165], s[8:9] sc0 sc1      // 0000000031E0: DE758000 0008A4A0
	s_mov_b64 exec, -1                                         // 0000000031E8: BEFE01C1

00000000000031ec <label_00FB>:
	s_barrier                                                  // 0000000031EC: BF8A0000

00000000000031f0 <label_00FC>:
	s_mov_b32 s87, s4                                          // 0000000031F0: BED70004
	s_waitcnt lgkmcnt(0)                                       // 0000000031F4: BF8CC07F
	s_mov_b32 s83, -1                                          // 0000000031F8: BED300C1
	s_mov_b32 s84, -1                                          // 0000000031FC: BED400C1
	s_mov_b32 s85, -1                                          // 000000003200: BED500C1
	s_cmp_eq_u32 s7, 0                                         // 000000003204: BF068007
	s_cselect_b32 s82, s87, -1                                 // 000000003208: 8552C157
	v_and_b32_e32 v53, 15, v0                                  // 00000000320C: 266A008F
	v_cmp_eq_u32_e32 vcc, 0, v53                               // 000000003210: 7D946A80
	v_mov_b32_e32 v54, s87                                     // 000000003214: 7E6C0257
	v_mov_b32_e32 v55, -1                                      // 000000003218: 7E6E02C1
	v_cndmask_b32_e32 v7, v55, v54, vcc                        // 00000000321C: 000E6D37
	v_mov_b32_e32 v8, -1                                       // 000000003220: 7E1002C1
	v_mov_b32_e32 v54, s88                                     // 000000003224: 7E6C0258
	v_mov_b32_e32 v55, 0                                       // 000000003228: 7E6E0280
	v_cndmask_b32_e32 v27, v55, v54, vcc                       // 00000000322C: 00366D37
	s_lshr_b32 s60, s7, 1                                      // 000000003230: 8F3C8107
	s_lshl_b32 s60, s60, 3                                     // 000000003234: 8E3C833C
	s_and_b32 s61, s7, 1                                       // 000000003238: 863D8107
	s_lshl_b32 s61, s61, 1                                     // 00000000323C: 8E3D813D
	s_or_b32 s60, s60, s61                                     // 000000003240: 873C3D3C
	v_lshrrev_b32_e32 v46, 3, v0                               // 000000003244: 205C0083
	v_and_b32_e32 v47, 2, v46                                  // 000000003248: 265E5C82
	v_lshlrev_b32_e32 v47, 1, v47                              // 00000000324C: 245E5E81
	v_and_b32_e32 v48, 1, v46                                  // 000000003250: 26605C81
	v_or_b32_e32 v47, v47, v48                                 // 000000003254: 285E612F
	v_add_u32_e32 v47, s60, v47                                // 000000003258: 685E5E3C
	v_and_b32_e32 v48, 3, v0                                   // 00000000325C: 26600083
	v_lshlrev_b32_e32 v48, 4, v48                              // 000000003260: 24606084
	v_add_u32_e32 v47, v47, v48                                // 000000003264: 685E612F
	v_lshrrev_b32_e32 v46, 5, v0                               // 000000003268: 205C0085
	v_lshlrev_b32_e32 v46, 8, v46                              // 00000000326C: 245C5C88
	v_lshlrev_b32_e32 v47, 2, v47                              // 000000003270: 245E5E82
	v_add_u32_e32 v33, v46, v47                                // 000000003274: 68425F2E
	s_mov_b32 s80, 0                                           // 000000003278: BED00080
	s_mov_b32 s81, s64                                         // 00000000327C: BED10040
	s_waitcnt lgkmcnt(0)                                       // 000000003280: BF8CC07F
	s_mul_i32 s62, s87, s68                                    // 000000003284: 923E4457
	s_mov_b64 exec, -1                                         // 000000003288: BEFE01C1
	v_mov_b32_e32 v34, 0x7fffffff                              // 00000000328C: 7E4402FF 7FFFFFFF
	s_cmp_eq_u32 s7, 0                                         // 000000003294: BF068007
	s_cselect_b32 s60, 0xff, 0                                 // 000000003298: 853C80FF 000000FF
	s_cselect_b32 s61, 0xff, 0                                 // 0000000032A0: 853D80FF 000000FF
	s_mov_b64 exec, s[60:61]                                   // 0000000032A8: BEFE013C
	v_mov_b32_e32 v34, s62                                     // 0000000032AC: 7E44023E
	s_mov_b64 exec, -1                                         // 0000000032B0: BEFE01C1
	v_and_b32_e64 v46, v0, 7                                   // 0000000032B4: D113002E 00010F00
	v_lshlrev_b32_e32 v46, 5, v46                              // 0000000032BC: 245C5C85
	v_add_u32_e32 v34, v34, v46                                // 0000000032C0: 68445D22
	s_mov_b32 s62, 0x100                                       // 0000000032C4: BEBE00FF 00000100
	s_mov_b32 s60, 0                                           // 0000000032CC: BEBC0080
	s_mov_b32 s61, -1                                          // 0000000032D0: BEBD00C1
	s_mov_b64 exec, s[60:61]                                   // 0000000032D4: BEFE013C
	v_add_u32_e64 v34, v34, s62                                // 0000000032D8: D1340022 00007D22
	s_mov_b64 exec, -1                                         // 0000000032E0: BEFE01C1
	v_lshlrev_b32_e32 v46, 2, v0                               // 0000000032E4: 245C0082
	s_mul_i32 s60, s82, s71                                    // 0000000032E8: 923C4752
	v_add_u32_e64 v80, v46, s60                                // 0000000032EC: D1340050 0000792E
	v_mov_b32_e32 v81, 0                                       // 0000000032F4: 7EA20280
	s_mul_i32 s60, s83, s71                                    // 0000000032F8: 923C4753
	v_add_u32_e64 v82, v46, s60                                // 0000000032FC: D1340052 0000792E
	v_mov_b32_e32 v83, 0                                       // 000000003304: 7EA60280
	s_mul_i32 s60, s84, s71                                    // 000000003308: 923C4754
	v_add_u32_e64 v84, v46, s60                                // 00000000330C: D1340054 0000792E
	v_mov_b32_e32 v85, 0                                       // 000000003314: 7EAA0280
	s_mul_i32 s60, s85, s71                                    // 000000003318: 923C4755
	v_add_u32_e64 v86, v46, s60                                // 00000000331C: D1340056 0000792E
	v_mov_b32_e32 v87, 0                                       // 000000003324: 7EAE0280
	s_mul_i32 s60, s7, 0x420                                   // 000000003328: 923CFF07 00000420
	s_add_u32 s50, 0, s60                                      // 000000003330: 80323C80
	s_add_u32 s51, 0x1500, s50                                 // 000000003334: 803332FF 00001500
	s_add_u32 s52, 0x1500, s51                                 // 00000000333C: 803433FF 00001500
	v_and_b32_e32 v46, 15, v0                                  // 000000003344: 265C008F
	v_lshrrev_b32_e32 v47, 3, v46                              // 000000003348: 205E5C83
	v_mul_lo_u32 v47, 2, v47                                   // 00000000334C: D285002F 00025E82
	v_and_b32_e32 v46, 3, v0                                   // 000000003354: 265C0083
	v_lshrrev_b32_e32 v48, 1, v46                              // 000000003358: 20605C81
	v_add_u32_e32 v46, v47, v48                                // 00000000335C: 685C612F
	v_mul_i32_i24_e32 v2, 0x420, v46                           // 000000003360: 0C045CFF 00000420
	v_and_b32_e32 v46, 7, v0                                   // 000000003368: 265C0087
	v_lshrrev_b32_e32 v47, 2, v46                              // 00000000336C: 205E5C82
	v_mul_i32_i24_e32 v47, 0x100, v47                          // 000000003370: 0C5E5EFF 00000100
	v_and_b32_e32 v46, 1, v0                                   // 000000003378: 265C0081
	v_mul_i32_i24_e32 v48, 0x80, v46                           // 00000000337C: 0C605CFF 00000080
	v_add_u32_e32 v2, v47, v2                                  // 000000003384: 6804052F
	v_add_u32_e32 v2, v48, v2                                  // 000000003388: 68040530
	v_lshrrev_b32_e32 v46, 4, v0                               // 00000000338C: 205C0084
	v_mul_lo_u32 v46, 16, v46                                  // 000000003390: D285002E 00025C90
	v_add_u32_e32 v2, v46, v2                                  // 000000003398: 6804052E
	s_mul_i32 s60, s2, 0x80                                    // 00000000339C: 923CFF02 00000080
	s_mul_i32 s60, s60, s69                                    // 0000000033A4: 923C453C
	s_mul_i32 s61, s5, s72                                     // 0000000033A8: 923D4805
	s_add_u32 s60, s61, s60                                    // 0000000033AC: 803C3C3D
	s_add_u32 s24, s60, s24                                    // 0000000033B0: 8018183C
	s_addc_u32 s25, 0, s25                                     // 0000000033B4: 82191980
	s_mul_i32 s60, s7, 16                                      // 0000000033B8: 923C9007
	s_mul_i32 s60, s60, s69                                    // 0000000033BC: 923C453C
	v_lshlrev_b32_e32 v36, 4, v0                               // 0000000033C0: 24480084
	v_add_u32_e32 v36, s60, v36                                // 0000000033C4: 6848483C
	s_mul_i32 s60, 64, s69                                     // 0000000033C8: 923C45C0
	v_add_u32_e32 v37, s60, v36                                // 0000000033CC: 684A483C
	s_mov_b32 s92, s24                                         // 0000000033D0: BEDC0018
	s_mov_b32 s93, s25                                         // 0000000033D4: BEDD0019
	s_mov_b32 s94, s26                                         // 0000000033D8: BEDE001A
	s_mov_b32 s95, s27                                         // 0000000033DC: BEDF001B
	s_mul_i32 s60, s69, s65                                    // 0000000033E0: 923C4145
	s_add_u32 s92, s60, s92                                    // 0000000033E4: 805C5C3C
	s_addc_u32 s93, 0, s93                                     // 0000000033E8: 825D5D80
	s_mul_i32 s60, s2, 0x800                                   // 0000000033EC: 923CFF02 00000800
	s_mul_i32 s61, s5, s73                                     // 0000000033F4: 923D4905
	s_add_u32 s60, s61, s60                                    // 0000000033F8: 803C3C3D
	s_add_u32 s12, s60, s12                                    // 0000000033FC: 800C0C3C
	s_addc_u32 s13, 0, s13                                     // 000000003400: 820D0D80
	s_mul_i32 s60, s7, 16                                      // 000000003404: 923C9007
	s_mul_i32 s60, s60, s70                                    // 000000003408: 923C463C
	v_lshlrev_b32_e32 v38, 4, v0                               // 00000000340C: 244C0084
	v_add_u32_e32 v38, s60, v38                                // 000000003410: 684C4C3C
	s_mul_i32 s60, 64, s70                                     // 000000003414: 923C46C0
	v_add_u32_e32 v39, s60, v38                                // 000000003418: 684E4C3C
	v_add_u32_e32 v40, s60, v39                                // 00000000341C: 68504E3C
	v_add_u32_e32 v41, s60, v40                                // 000000003420: 6852503C
	s_mul_i32 s60, s70, 0x100                                  // 000000003424: 923CFF46 00000100
	s_mov_b32 s78, 0x800                                       // 00000000342C: BECE00FF 00000800
	s_mul_i32 s61, s78, 0                                      // 000000003434: 923D804E
	s_sub_u32 s56, s60, s61                                    // 000000003438: 80B83D3C
	s_lshr_b32 s60, s64, 7                                     // 00000000343C: 8F3C8740
	s_mul_i32 s61, s60, 4                                      // 000000003440: 923D843C
	v_and_b32_e64 v11, v0, 0                                   // 000000003444: D113000B 00010100
	v_mul_lo_u32 v11, v11, s61                                 // 00000000344C: D285000B 00007B0B
	v_and_b32_e64 v46, v0, 3                                   // 000000003454: D113002E 00010700
	v_lshrrev_b32_e32 v46, 1, v46                              // 00000000345C: 205C5C81
	v_mul_lo_u32 v46, 4, v46                                   // 000000003460: D285002E 00025C84
	v_add_u32_e32 v11, v11, v46                                // 000000003468: 68165D0B
	s_lshr_b32 s60, s65, 7                                     // 00000000346C: 8F3C8741
	s_mul_i32 s60, s60, s61                                    // 000000003470: 923C3D3C
	v_add_u32_e64 v13, v11, s60                                // 000000003474: D134000D 0000790B
	s_mov_b32 s4, 8                                            // 00000000347C: BE840088
	s_mul_i32 s60, s2, 1                                       // 000000003480: 923C8102
	s_mul_i32 s60, s60, s61                                    // 000000003484: 923C3D3C
	s_mul_i32 s61, s5, s74                                     // 000000003488: 923D4A05
	s_add_u32 s61, s61, s60                                    // 00000000348C: 803D3C3D
	s_add_u32 s32, s61, s32                                    // 000000003490: 8020203D
	s_addc_u32 s33, 0, s33                                     // 000000003494: 82212180
	s_lshr_b32 s60, s65, 7                                     // 000000003498: 8F3C8741
	s_mul_i32 s61, s60, 4                                      // 00000000349C: 923D843C
	s_mul_i32 s60, s2, 1                                       // 0000000034A0: 923C8102
	s_mul_i32 s60, s60, 4                                      // 0000000034A4: 923C843C
	v_and_b32_e64 v6, v0, 1                                    // 0000000034A8: D1130006 00010300
	v_mul_lo_u32 v6, v6, s61                                   // 0000000034B0: D2850006 00007B06
	v_and_b32_e64 v46, v0, 1                                   // 0000000034B8: D113002E 00010300
	v_lshrrev_b32_e32 v46, 1, v46                              // 0000000034C0: 205C5C81
	v_mul_lo_u32 v46, 4, v46                                   // 0000000034C4: D285002E 00025C84
	v_add_i32 v6, v6, v46                                      // 0000000034CC: D29C0006 00025D06
	v_add_i32 v6, v6, s60                                      // 0000000034D4: D29C0006 00007906
	s_mul_i32 s60, s5, s75                                     // 0000000034DC: 923C4B05
	s_add_u32 s16, s60, s16                                    // 0000000034E0: 8010103C
	s_addc_u32 s17, 0, s17                                     // 0000000034E4: 82111180
	s_mov_b32 s57, 0x200                                       // 0000000034E8: BEB900FF 00000200
	s_mov_b32 s58, 0x1000                                      // 0000000034F0: BEBA00FF 00001000
	s_mul_i32 s79, 2, s61                                      // 0000000034F8: 924F3D82
	s_mov_b32 s59, 0                                           // 0000000034FC: BEBB0080
	s_mov_b32 s90, s58                                         // 000000003500: BEDA003A
	s_mov_b32 s53, 0x7060302                                   // 000000003504: BEB500FF 07060302
	s_mov_b32 s54, 0x400                                       // 00000000350C: BEB600FF 00000400
	s_mov_b32 s55, 0x40100                                     // 000000003514: BEB700FF 00040100
	s_mov_b32 s63, 0x4020100                                   // 00000000351C: BEBF00FF 04020100
	s_mov_b32 s6, 0x3fb8aa3b                                   // 000000003524: BE8600FF 3FB8AA3B
	s_mov_b32 s77, 0xbd92220c                                  // 00000000352C: BECD00FF BD92220C
	s_mov_b32 m0, s50                                          // 000000003534: BEFC0032
	v_mov_b32_e32 v1, 0xbfcc4231                               // 000000003538: 7E0202FF BFCC4231
	v_mov_b32_e32 v43, 0xffff0000                              // 000000003540: 7E5602FF FFFF0000
	v_mov_b32_e32 v44, 0x7fff0000                              // 000000003548: 7E5802FF 7FFF0000
	v_mov_b32_e32 v45, 0x7fff                                  // 000000003550: 7E5A02FF 00007FFF
	s_waitcnt vmcnt(0) expcnt(0) lgkmcnt(0)                    // 000000003558: BF8C0000
	v_and_b32_e32 v7, 0xffffff, v7                             // 00000000355C: 260E0EFF 00FFFFFF
	v_and_b32_e32 v8, 0xffffff, v8                             // 000000003564: 261010FF 00FFFFFF
	v_lshlrev_b32_e32 v7, 2, v7                                // 00000000356C: 240E0E82
	v_lshlrev_b32_e32 v8, 2, v8                                // 000000003570: 24101082
	v_lshlrev_b32_e32 v3, 2, v0                                // 000000003574: 24060082
	buffer_load_dwordx4 v[112:115], v34, s[20:23], 0 offen     // 000000003578: E05C1000 80057022
	buffer_load_dwordx4 v[116:119], v34, s[20:23], 0 offen offset:16// 000000003580: E05C1010 80057422
	s_add_u32 s20, s57, s20                                    // 000000003588: 80141439
	s_addc_u32 s21, 0, s21                                     // 00000000358C: 82151580
	buffer_load_dword v21, v11, s[32:35], 0 offen              // 000000003590: E0501000 8008150B
	buffer_load_dword v24, v13, s[32:35], 0 offen              // 000000003598: E0501000 8008180D
	s_add_u32 s60, 0x100, s80                                  // 0000000035A0: 803C50FF 00000100
	s_cmp_lt_u32 s60, s81                                      // 0000000035A8: BF0A513C
	s_cselect_b32 s4, s4, 0                                    // 0000000035AC: 85048004
	s_add_u32 s32, s4, s32                                     // 0000000035B0: 80202004
	s_addc_u32 s33, 0, s33                                     // 0000000035B4: 82212180
	buffer_load_dwordx4 a[0:3], v36, s[24:27], 0 offen         // 0000000035B8: E05C1000 80860024
	buffer_load_dwordx4 a[4:7], v36, s[24:27], 0 offen offset:1024// 0000000035C0: E05C1400 80860424
	buffer_load_dwordx4 a[8:11], v37, s[24:27], 0 offen        // 0000000035C8: E05C1000 80860825
	buffer_load_dwordx4 a[12:15], v37, s[24:27], 0 offen offset:1024// 0000000035D0: E05C1400 80860C25
	buffer_load_dwordx4 a[16:19], v36, s[24:27], 0 offen offset:2048// 0000000035D8: E05C1800 80861024
	buffer_load_dwordx4 a[20:23], v36, s[24:27], 0 offen offset:3072// 0000000035E0: E05C1C00 80861424
	buffer_load_dwordx4 a[24:27], v37, s[24:27], 0 offen offset:2048// 0000000035E8: E05C1800 80861825
	buffer_load_dwordx4 a[28:31], v37, s[24:27], 0 offen offset:3072// 0000000035F0: E05C1C00 80861C25
	buffer_load_dwordx4 a[32:35], v36, s[92:95], 0 offen       // 0000000035F8: E05C1000 80972024
	buffer_load_dwordx4 a[36:39], v36, s[92:95], 0 offen offset:1024// 000000003600: E05C1400 80972424
	buffer_load_dwordx4 a[40:43], v37, s[92:95], 0 offen       // 000000003608: E05C1000 80972825
	buffer_load_dwordx4 a[44:47], v37, s[92:95], 0 offen offset:1024// 000000003610: E05C1400 80972C25
	buffer_load_dwordx4 a[48:51], v36, s[92:95], 0 offen offset:2048// 000000003618: E05C1800 80973024
	buffer_load_dwordx4 a[52:55], v36, s[92:95], 0 offen offset:3072// 000000003620: E05C1C00 80973424
	buffer_load_dwordx4 a[56:59], v37, s[92:95], 0 offen offset:2048// 000000003628: E05C1800 80973825
	buffer_load_dwordx4 a[60:63], v37, s[92:95], 0 offen offset:3072// 000000003630: E05C1C00 80973C25
	s_add_u32 s24, s58, s24                                    // 000000003638: 8018183A
	s_addc_u32 s25, 0, s25                                     // 00000000363C: 82191980
	s_add_u32 s92, s90, s92                                    // 000000003640: 805C5C5A
	s_addc_u32 s93, 0, s93                                     // 000000003644: 825D5D80
	buffer_load_dwordx4 v[128:131], v34, s[20:23], 0 offen     // 000000003648: E05C1000 80058022
	buffer_load_dwordx4 v[132:135], v34, s[20:23], 0 offen offset:16// 000000003650: E05C1010 80058422
	s_add_u32 s60, 0x200, s80                                  // 000000003658: 803C50FF 00000200
	s_cmp_lt_u32 s60, s81                                      // 000000003660: BF0A513C
	s_cselect_b32 s57, s57, 0                                  // 000000003664: 85398039
	s_add_u32 s20, s57, s20                                    // 000000003668: 80141439
	s_addc_u32 s21, 0, s21                                     // 00000000366C: 82151580
	buffer_load_dword v22, v11, s[32:35], 0 offen              // 000000003670: E0501000 8008160B
	buffer_load_dword v25, v13, s[32:35], 0 offen              // 000000003678: E0501000 8008190D
	s_add_u32 s60, 0x200, s80                                  // 000000003680: 803C50FF 00000200
	s_cmp_lt_u32 s60, s81                                      // 000000003688: BF0A513C
	s_cselect_b32 s4, s4, 0                                    // 00000000368C: 85048004
	s_add_u32 s32, s4, s32                                     // 000000003690: 80202004
	s_addc_u32 s33, 0, s33                                     // 000000003694: 82212180
	buffer_load_dwordx4 a[64:67], v36, s[24:27], 0 offen       // 000000003698: E05C1000 80864024
	buffer_load_dwordx4 a[68:71], v36, s[24:27], 0 offen offset:1024// 0000000036A0: E05C1400 80864424
	buffer_load_dwordx4 a[72:75], v37, s[24:27], 0 offen       // 0000000036A8: E05C1000 80864825
	buffer_load_dwordx4 a[76:79], v37, s[24:27], 0 offen offset:1024// 0000000036B0: E05C1400 80864C25
	buffer_load_dwordx4 a[80:83], v36, s[24:27], 0 offen offset:2048// 0000000036B8: E05C1800 80865024
	buffer_load_dwordx4 a[84:87], v36, s[24:27], 0 offen offset:3072// 0000000036C0: E05C1C00 80865424
	buffer_load_dwordx4 a[88:91], v37, s[24:27], 0 offen offset:2048// 0000000036C8: E05C1800 80865825
	buffer_load_dwordx4 a[92:95], v37, s[24:27], 0 offen offset:3072// 0000000036D0: E05C1C00 80865C25
	buffer_load_dwordx4 a[96:99], v36, s[92:95], 0 offen       // 0000000036D8: E05C1000 80976024
	buffer_load_dwordx4 a[100:103], v36, s[92:95], 0 offen offset:1024// 0000000036E0: E05C1400 80976424
	buffer_load_dwordx4 a[104:107], v37, s[92:95], 0 offen     // 0000000036E8: E05C1000 80976825
	buffer_load_dwordx4 a[108:111], v37, s[92:95], 0 offen offset:1024// 0000000036F0: E05C1400 80976C25
	buffer_load_dwordx4 a[112:115], v36, s[92:95], 0 offen offset:2048// 0000000036F8: E05C1800 80977024
	buffer_load_dwordx4 a[116:119], v36, s[92:95], 0 offen offset:3072// 000000003700: E05C1C00 80977424
	buffer_load_dwordx4 a[120:123], v37, s[92:95], 0 offen offset:2048// 000000003708: E05C1800 80977825
	buffer_load_dwordx4 a[124:127], v37, s[92:95], 0 offen offset:3072// 000000003710: E05C1C00 80977C25
	s_add_u32 s60, 0x200, s80                                  // 000000003718: 803C50FF 00000200
	s_cmp_lt_u32 s60, s81                                      // 000000003720: BF0A513C
	s_cselect_b32 s58, s58, 0                                  // 000000003724: 853A803A
	s_cselect_b32 s90, s90, 0                                  // 000000003728: 855A805A
	s_add_u32 s24, s58, s24                                    // 00000000372C: 8018183A
	s_addc_u32 s25, 0, s25                                     // 000000003730: 82191980
	s_add_u32 s92, s90, s92                                    // 000000003734: 805C5C5A
	s_addc_u32 s93, 0, s93                                     // 000000003738: 825D5D80
	v_mov_b32_e32 v96, 0                                       // 00000000373C: 7EC00280
	v_mov_b32_e32 v64, 0                                       // 000000003740: 7E800280
	v_mov_b32_e32 v97, 0                                       // 000000003744: 7EC20280
	v_mov_b32_e32 v65, 0                                       // 000000003748: 7E820280
	v_mov_b32_e32 v98, 0                                       // 00000000374C: 7EC40280
	v_mov_b32_e32 v66, 0                                       // 000000003750: 7E840280
	v_mov_b32_e32 v99, 0                                       // 000000003754: 7EC60280
	v_mov_b32_e32 v67, 0                                       // 000000003758: 7E860280
	v_mov_b32_e32 v100, 0                                      // 00000000375C: 7EC80280
	v_mov_b32_e32 v68, 0                                       // 000000003760: 7E880280
	v_mov_b32_e32 v101, 0                                      // 000000003764: 7ECA0280
	v_mov_b32_e32 v69, 0                                       // 000000003768: 7E8A0280
	v_mov_b32_e32 v102, 0                                      // 00000000376C: 7ECC0280
	v_mov_b32_e32 v70, 0                                       // 000000003770: 7E8C0280
	v_mov_b32_e32 v103, 0                                      // 000000003774: 7ECE0280
	v_mov_b32_e32 v71, 0                                       // 000000003778: 7E8E0280
	v_mov_b32_e32 v104, 0                                      // 00000000377C: 7ED00280
	v_mov_b32_e32 v72, 0                                       // 000000003780: 7E900280
	v_mov_b32_e32 v105, 0                                      // 000000003784: 7ED20280
	v_mov_b32_e32 v73, 0                                       // 000000003788: 7E920280
	v_mov_b32_e32 v106, 0                                      // 00000000378C: 7ED40280
	v_mov_b32_e32 v74, 0                                       // 000000003790: 7E940280
	v_mov_b32_e32 v107, 0                                      // 000000003794: 7ED60280
	v_mov_b32_e32 v75, 0                                       // 000000003798: 7E960280
	v_mov_b32_e32 v108, 0                                      // 00000000379C: 7ED80280
	v_mov_b32_e32 v76, 0                                       // 0000000037A0: 7E980280
	v_mov_b32_e32 v109, 0                                      // 0000000037A4: 7EDA0280
	v_mov_b32_e32 v77, 0                                       // 0000000037A8: 7E9A0280
	v_mov_b32_e32 v110, 0                                      // 0000000037AC: 7EDC0280
	v_mov_b32_e32 v78, 0                                       // 0000000037B0: 7E9C0280
	v_mov_b32_e32 v111, 0                                      // 0000000037B4: 7EDE0280
	v_mov_b32_e32 v79, 0                                       // 0000000037B8: 7E9E0280
	v_lshrrev_b32_e32 v46, 4, v0                               // 0000000037BC: 205C0084
	v_mul_lo_u32 v4, 34, v46                                   // 0000000037C0: D2850004 00025CA2
	v_and_b32_e32 v46, 15, v0                                  // 0000000037C8: 265C008F
	v_mul_lo_u32 v47, 2, v46                                   // 0000000037CC: D285002F 00025C82
	v_add_u32_e32 v4, v47, v4                                  // 0000000037D4: 6808092F
	s_mul_i32 s60, s7, 0x88                                    // 0000000037D8: 923CFF07 00000088
	v_add_u32_e32 v4, s60, v4                                  // 0000000037E0: 6808083C
	v_lshlrev_b32_e32 v4, 2, v4                                // 0000000037E4: 24080882
	v_lshrrev_b32_e32 v46, 1, v0                               // 0000000037E8: 205C0081
	v_mul_lo_u32 v5, 34, v46                                   // 0000000037EC: D2850005 00025CA2
	v_and_b32_e32 v47, 1, v0                                   // 0000000037F4: 265E0081
	v_add_u32_e32 v5, v47, v5                                  // 0000000037F8: 680A0B2F
	s_mov_b32 s60, 0                                           // 0000000037FC: BEBC0080
	s_lshr_b32 s61, s7, 1                                      // 000000003800: 8F3D8107
	s_mul_i32 s61, s61, 8                                      // 000000003804: 923D883D
	s_add_u32 s60, s61, s60                                    // 000000003808: 803C3C3D
	s_and_b32 s61, s7, 1                                       // 00000000380C: 863D8107
	s_mul_i32 s61, s61, 2                                      // 000000003810: 923D823D
	s_add_u32 s60, s61, s60                                    // 000000003814: 803C3C3D
	s_mul_i32 s60, 2, s60                                      // 000000003818: 923C3C82
	v_add_u32_e32 v5, s60, v5                                  // 00000000381C: 680A0A3C
	v_lshlrev_b32_e32 v5, 2, v5                                // 000000003820: 240A0A82
	s_waitcnt vmcnt(34)                                        // 000000003824: BF8C8F72
	v_mov_b32_e32 v30, 0                                       // 000000003828: 7E3C0280
	v_lshlrev_b32_e32 v46, 16, v112                            // 00000000382C: 245CE090
	v_and_b32_e32 v47, 0xffff0000, v112                        // 000000003830: 265EE0FF FFFF0000
	v_max3_f32 v30, |v47|, |v46|, v30                          // 000000003838: D1D3031E 047A5D2F
	v_lshlrev_b32_e32 v46, 16, v113                            // 000000003840: 245CE290
	v_and_b32_e32 v47, 0xffff0000, v113                        // 000000003844: 265EE2FF FFFF0000
	v_max3_f32 v30, |v47|, |v46|, v30                          // 00000000384C: D1D3031E 047A5D2F
	v_lshlrev_b32_e32 v46, 16, v114                            // 000000003854: 245CE490
	v_and_b32_e32 v47, 0xffff0000, v114                        // 000000003858: 265EE4FF FFFF0000
	v_max3_f32 v30, |v47|, |v46|, v30                          // 000000003860: D1D3031E 047A5D2F
	v_lshlrev_b32_e32 v46, 16, v115                            // 000000003868: 245CE690
	v_and_b32_e32 v47, 0xffff0000, v115                        // 00000000386C: 265EE6FF FFFF0000
	v_max3_f32 v30, |v47|, |v46|, v30                          // 000000003874: D1D3031E 047A5D2F
	v_lshlrev_b32_e32 v46, 16, v116                            // 00000000387C: 245CE890
	v_and_b32_e32 v47, 0xffff0000, v116                        // 000000003880: 265EE8FF FFFF0000
	v_max3_f32 v30, |v47|, |v46|, v30                          // 000000003888: D1D3031E 047A5D2F
	v_lshlrev_b32_e32 v46, 16, v117                            // 000000003890: 245CEA90
	v_and_b32_e32 v47, 0xffff0000, v117                        // 000000003894: 265EEAFF FFFF0000
	v_max3_f32 v30, |v47|, |v46|, v30                          // 00000000389C: D1D3031E 047A5D2F
	v_lshlrev_b32_e32 v46, 16, v118                            // 0000000038A4: 245CEC90
	v_and_b32_e32 v47, 0xffff0000, v118                        // 0000000038A8: 265EECFF FFFF0000
	v_max3_f32 v30, |v47|, |v46|, v30                          // 0000000038B0: D1D3031E 047A5D2F
	v_lshlrev_b32_e32 v46, 16, v119                            // 0000000038B8: 245CEE90
	v_and_b32_e32 v47, 0xffff0000, v119                        // 0000000038BC: 265EEEFF FFFF0000
	v_max3_f32 v30, |v47|, |v46|, v30                          // 0000000038C4: D1D3031E 047A5D2F
	s_barrier                                                  // 0000000038CC: BF8A0000
	v_max_f32_dpp v31, v30, v30 quad_perm:[1,2,3,0] row_mask:0xf bank_mask:0xf// 0000000038D0: 163E3CFA FF00391E
	s_nop 1                                                    // 0000000038D8: BF800001
	v_max_f32_dpp v46, v31, v31 quad_perm:[2,3,0,1] row_mask:0xf bank_mask:0xf// 0000000038DC: 165C3EFA FF004E1F
	s_nop 1                                                    // 0000000038E4: BF800001
	v_max_f32_dpp v30, v46, v46 row_half_mirror row_mask:0xf bank_mask:0xf// 0000000038E8: 163C5CFA FF01412E
	v_rcp_f32_e32 v46, v30                                     // 0000000038F0: 7E5C451E
	v_mov_b32_e32 v47, 0x43e00000                              // 0000000038F4: 7E5E02FF 43E00000
	v_mul_f32_e32 v31, v47, v46                                // 0000000038FC: 0A3E5D2F
	v_mov_b32_e32 v30, v31                                     // 000000003900: 7E3C031F
	v_lshlrev_b32_e32 v46, 16, v112                            // 000000003904: 245CE090
	v_and_b32_e32 v47, 0xffff0000, v112                        // 000000003908: 265EE0FF FFFF0000
	v_pk_mul_f32 v[46:47], v[46:47], v[30:31]                  // 000000003910: D3B1402E 18023D2E
	v_cvt_pk_fp8_f32 v112, v46, v47                            // 000000003918: D2A20070 00025F2E
	v_lshlrev_b32_e32 v46, 16, v113                            // 000000003920: 245CE290
	v_and_b32_e32 v47, 0xffff0000, v113                        // 000000003924: 265EE2FF FFFF0000
	v_pk_mul_f32 v[46:47], v[46:47], v[30:31]                  // 00000000392C: D3B1402E 18023D2E
	v_cvt_pk_fp8_f32 v112, v46, v47 op_sel:[0,0,1]             // 000000003934: D2A24070 00025F2E
	v_lshlrev_b32_e32 v46, 16, v114                            // 00000000393C: 245CE490
	v_and_b32_e32 v47, 0xffff0000, v114                        // 000000003940: 265EE4FF FFFF0000
	v_pk_mul_f32 v[46:47], v[46:47], v[30:31]                  // 000000003948: D3B1402E 18023D2E
	v_cvt_pk_fp8_f32 v113, v46, v47                            // 000000003950: D2A20071 00025F2E
	v_lshlrev_b32_e32 v46, 16, v115                            // 000000003958: 245CE690
	v_and_b32_e32 v47, 0xffff0000, v115                        // 00000000395C: 265EE6FF FFFF0000
	v_pk_mul_f32 v[46:47], v[46:47], v[30:31]                  // 000000003964: D3B1402E 18023D2E
	v_cvt_pk_fp8_f32 v113, v46, v47 op_sel:[0,0,1]             // 00000000396C: D2A24071 00025F2E
	v_lshlrev_b32_e32 v46, 16, v116                            // 000000003974: 245CE890
	v_and_b32_e32 v47, 0xffff0000, v116                        // 000000003978: 265EE8FF FFFF0000
	v_pk_mul_f32 v[46:47], v[46:47], v[30:31]                  // 000000003980: D3B1402E 18023D2E
	v_cvt_pk_fp8_f32 v114, v46, v47                            // 000000003988: D2A20072 00025F2E
	v_lshlrev_b32_e32 v46, 16, v117                            // 000000003990: 245CEA90
	v_and_b32_e32 v47, 0xffff0000, v117                        // 000000003994: 265EEAFF FFFF0000
	v_pk_mul_f32 v[46:47], v[46:47], v[30:31]                  // 00000000399C: D3B1402E 18023D2E
	v_cvt_pk_fp8_f32 v114, v46, v47 op_sel:[0,0,1]             // 0000000039A4: D2A24072 00025F2E
	v_lshlrev_b32_e32 v46, 16, v118                            // 0000000039AC: 245CEC90
	v_and_b32_e32 v47, 0xffff0000, v118                        // 0000000039B0: 265EECFF FFFF0000
	v_pk_mul_f32 v[46:47], v[46:47], v[30:31]                  // 0000000039B8: D3B1402E 18023D2E
	v_cvt_pk_fp8_f32 v115, v46, v47                            // 0000000039C0: D2A20073 00025F2E
	v_lshlrev_b32_e32 v46, 16, v119                            // 0000000039C8: 245CEE90
	v_and_b32_e32 v47, 0xffff0000, v119                        // 0000000039CC: 265EEEFF FFFF0000
	v_pk_mul_f32 v[46:47], v[46:47], v[30:31]                  // 0000000039D4: D3B1402E 18023D2E
	v_cvt_pk_fp8_f32 v115, v46, v47 op_sel:[0,0,1]             // 0000000039DC: D2A24073 00025F2E
	v_lshlrev_b32_e32 v46, 4, v0                               // 0000000039E4: 245C0084
	v_add_u32_e64 v46, v46, s50                                // 0000000039E8: D134002E 0000652E
	ds_write_b128 v46, v[112:115]                              // 0000000039F0: D9BE0000 0000702E
	v_rcp_f32_e32 v32, v31                                     // 0000000039F8: 7E40451F
	v_add_u32_e32 v46, 0, v33                                  // 0000000039FC: 685C4280
	s_mov_b64 s[60:61], exec                                   // 000000003A00: BEBC017E
	s_mov_b32 s62, 0xf0f0f0f                                   // 000000003A04: BEBE00FF 0F0F0F0F
	s_mov_b32 s63, 0xf0f0f0f                                   // 000000003A0C: BEBF00FF 0F0F0F0F
	s_mov_b64 exec, s[62:63]                                   // 000000003A14: BEFE013E
	ds_write_b32 v46, v32 offset:4352                          // 000000003A18: D81A1100 0000202E
	s_mov_b64 exec, s[60:61]                                   // 000000003A20: BEFE013C
	s_waitcnt lgkmcnt(0)                                       // 000000003A24: BF8CC07F
	s_barrier                                                  // 000000003A28: BF8A0000
	ds_read_b128 v[112:115], v2                                // 000000003A2C: D9FE0000 70000002
	ds_read_b128 v[116:119], v2 offset:64                      // 000000003A34: D9FE0040 74000002
	ds_read_b128 v[120:123], v2 offset:512                     // 000000003A3C: D9FE0200 78000002
	ds_read_b128 v[124:127], v2 offset:576                     // 000000003A44: D9FE0240 7C000002
	ds_read_b32 v15, v3 offset:4352                            // 000000003A4C: D86C1100 0F000003
	ds_read_b32 v16, v3 offset:4608                            // 000000003A54: D86C1200 10000003
	ds_read_b32 v17, v3 offset:4864                            // 000000003A5C: D86C1300 11000003
	ds_read_b32 v18, v3 offset:5120                            // 000000003A64: D86C1400 12000003
	s_cmp_eq_u32 s98, 1                                        // 000000003A6C: BF068162
	s_cbranch_scc0 label_032F                                  // 000000003A70: BF840012
	s_cmp_eq_u32 s7, 0                                         // 000000003A74: BF068007
	s_cbranch_scc0 label_032E                                  // 000000003A78: BF84000F
	s_mov_b64 exec, 1                                          // 000000003A7C: BEFE0181
	s_mov_b32 s61, 0xdeadc0de                                  // 000000003A80: BEBD00FF DEADC0DE

0000000000003a88 <label_0322>:
	s_sleep 2                                                  // 000000003A88: BF8E0002
	v_mov_b32_e32 v160, s99                                    // 000000003A8C: 7F400263
	global_load_dwordx2 v[168:169], v160, s[8:9] sc0 sc1       // 000000003A90: DE558000 A80800A0
	s_waitcnt vmcnt(0)                                         // 000000003A98: BF8C0F70
	v_readfirstlane_b32 s60, v168                              // 000000003A9C: 7E7805A8
	v_readfirstlane_b32 s62, v169                              // 000000003AA0: 7E7C05A9
	s_cmp_eq_u32 s62, s61                                      // 000000003AA4: BF063D3E
	s_cbranch_scc0 label_0322                                  // 000000003AA8: BF84FFF7
	s_cmp_eq_u32 s60, s96                                      // 000000003AAC: BF06603C
	s_cbranch_scc0 label_0322                                  // 000000003AB0: BF84FFF5
	s_mov_b64 exec, -1                                         // 000000003AB4: BEFE01C1

0000000000003ab8 <label_032E>:
	s_barrier                                                  // 000000003AB8: BF8A0000

0000000000003abc <label_032F>:
	s_cmp_lt_i32 s7, 2                                         // 000000003ABC: BF048207
	s_cbranch_scc0 label_0B90                                  // 000000003AC0: BF84085F

0000000000003ac4 <label_0331>:
	s_waitcnt vmcnt(35) lgkmcnt(0)                             // 000000003AC4: BF8C8073
	s_barrier                                                  // 000000003AC8: BF8A0000
	v_mfma_f32_16x16x128_f8f6f4 v[104:107], a[0:7], v[112:119], 0// 000000003ACC: D3AD0068 0A02E100
	s_waitcnt vmcnt(27)                                        // 000000003AD4: BF8C4F7B
	v_mfma_f32_16x16x128_f8f6f4 v[108:111], a[8:15], v[112:119], 0// 000000003AD8: D3AD006C 0A02E108
	buffer_load_dwordx4 v[144:147], v34, s[20:23], 0 offen     // 000000003AE0: E05C1000 80059022
	buffer_load_dwordx4 v[148:151], v34, s[20:23], 0 offen offset:16// 000000003AE8: E05C1010 80059422
	buffer_load_dword v23, v11, s[32:35], 0 offen              // 000000003AF0: E0501000 8008170B
	buffer_load_dword v26, v13, s[32:35], 0 offen              // 000000003AF8: E0501000 80081A0D
	buffer_load_dwordx4 a[128:131], v36, s[24:27], 0 offen     // 000000003B00: E05C1000 80868024
	buffer_load_dwordx4 a[132:135], v36, s[24:27], 0 offen offset:1024// 000000003B08: E05C1400 80868424
	buffer_load_dwordx4 a[136:139], v37, s[24:27], 0 offen     // 000000003B10: E05C1000 80868825
	buffer_load_dwordx4 a[140:143], v37, s[24:27], 0 offen offset:1024// 000000003B18: E05C1400 80868C25
	v_mul_f32_dpp v46, v21, v15 row_newbcast:0 row_mask:0xf bank_mask:0xf// 000000003B20: 0A5C1EFA FF015015
	v_mov_b32_e32 v47, v46                                     // 000000003B28: 7E5E032E
	v_pk_fma_f32 v[96:97], v[104:105], v[46:47], v[96:97]      // 000000003B2C: D3B04060 1D825D68
	v_pk_fma_f32 v[98:99], v[106:107], v[46:47], v[98:99]      // 000000003B34: D3B04062 1D8A5D6A
	v_pk_fma_f32 v[100:101], v[108:109], v[46:47], v[100:101]  // 000000003B3C: D3B04064 1D925D6C
	v_pk_fma_f32 v[102:103], v[110:111], v[46:47], v[102:103]  // 000000003B44: D3B04066 1D9A5D6E
	s_waitcnt vmcnt(33)                                        // 000000003B4C: BF8C8F71
	v_mfma_f32_16x16x128_f8f6f4 v[104:107], a[16:23], v[120:127], 0// 000000003B50: D3AD0068 0A02F110
	s_waitcnt vmcnt(31)                                        // 000000003B58: BF8C4F7F
	v_mfma_f32_16x16x128_f8f6f4 v[108:111], a[24:31], v[120:127], 0// 000000003B5C: D3AD006C 0A02F118
	buffer_load_dwordx4 a[144:147], v36, s[24:27], 0 offen offset:2048// 000000003B64: E05C1800 80869024
	buffer_load_dwordx4 a[148:151], v36, s[24:27], 0 offen offset:3072// 000000003B6C: E05C1C00 80869424
	buffer_load_dwordx4 a[152:155], v37, s[24:27], 0 offen offset:2048// 000000003B74: E05C1800 80869825
	buffer_load_dwordx4 a[156:159], v37, s[24:27], 0 offen offset:3072// 000000003B7C: E05C1C00 80869C25
	v_mul_f32_dpp v46, v21, v16 row_newbcast:2 row_mask:0xf bank_mask:0xf// 000000003B84: 0A5C20FA FF015215
	v_mov_b32_e32 v47, v46                                     // 000000003B8C: 7E5E032E
	v_pk_fma_f32 v[96:97], v[104:105], v[46:47], v[96:97]      // 000000003B90: D3B04060 1D825D68
	v_pk_fma_f32 v[98:99], v[106:107], v[46:47], v[98:99]      // 000000003B98: D3B04062 1D8A5D6A
	v_pk_fma_f32 v[100:101], v[108:109], v[46:47], v[100:101]  // 000000003BA0: D3B04064 1D925D6C
	v_pk_fma_f32 v[102:103], v[110:111], v[46:47], v[102:103]  // 000000003BA8: D3B04066 1D9A5D6E
	s_add_u32 s60, 0x300, s80                                  // 000000003BB0: 803C50FF 00000300
	s_cmp_lt_u32 s60, s81                                      // 000000003BB8: BF0A513C
	s_cselect_b32 s4, s4, 0                                    // 000000003BBC: 85048004
	s_add_u32 s32, s4, s32                                     // 000000003BC0: 80202004
	s_addc_u32 s33, 0, s33                                     // 000000003BC4: 82212180
	s_waitcnt vmcnt(21)                                        // 000000003BC8: BF8C4F75
	s_barrier                                                  // 000000003BCC: BF8A0000
	v_mfma_f32_16x16x128_f8f6f4 v[104:107], a[32:39], v[112:119], 0// 000000003BD0: D3AD0068 0A02E120
	s_waitcnt vmcnt(21)                                        // 000000003BD8: BF8C4F75
	v_mfma_f32_16x16x128_f8f6f4 v[108:111], a[40:47], v[112:119], 0// 000000003BDC: D3AD006C 0A02E128
	buffer_load_dwordx4 a[160:163], v36, s[92:95], 0 offen     // 000000003BE4: E05C1000 8097A024
	buffer_load_dwordx4 a[164:167], v36, s[92:95], 0 offen offset:1024// 000000003BEC: E05C1400 8097A424
	buffer_load_dwordx4 a[168:171], v37, s[92:95], 0 offen     // 000000003BF4: E05C1000 8097A825
	buffer_load_dwordx4 a[172:175], v37, s[92:95], 0 offen offset:1024// 000000003BFC: E05C1400 8097AC25
	s_waitcnt vmcnt(22)                                        // 000000003C04: BF8C4F76
	v_mov_b32_e32 v30, 0                                       // 000000003C08: 7E3C0280
	v_lshlrev_b32_e32 v46, 16, v128                            // 000000003C0C: 245D0090
	v_and_b32_e32 v47, 0xffff0000, v128                        // 000000003C10: 265F00FF FFFF0000
	v_max3_f32 v30, |v47|, |v46|, v30                          // 000000003C18: D1D3031E 047A5D2F
	v_lshlrev_b32_e32 v46, 16, v129                            // 000000003C20: 245D0290
	v_and_b32_e32 v47, 0xffff0000, v129                        // 000000003C24: 265F02FF FFFF0000
	v_max3_f32 v30, |v47|, |v46|, v30                          // 000000003C2C: D1D3031E 047A5D2F
	v_lshlrev_b32_e32 v46, 16, v130                            // 000000003C34: 245D0490
	v_and_b32_e32 v47, 0xffff0000, v130                        // 000000003C38: 265F04FF FFFF0000
	v_max3_f32 v30, |v47|, |v46|, v30                          // 000000003C40: D1D3031E 047A5D2F
	v_lshlrev_b32_e32 v46, 16, v131                            // 000000003C48: 245D0690
	v_and_b32_e32 v47, 0xffff0000, v131                        // 000000003C4C: 265F06FF FFFF0000
	v_max3_f32 v30, |v47|, |v46|, v30                          // 000000003C54: D1D3031E 047A5D2F
	v_lshlrev_b32_e32 v46, 16, v132                            // 000000003C5C: 245D0890
	v_and_b32_e32 v47, 0xffff0000, v132                        // 000000003C60: 265F08FF FFFF0000
	v_max3_f32 v30, |v47|, |v46|, v30                          // 000000003C68: D1D3031E 047A5D2F
	v_lshlrev_b32_e32 v46, 16, v133                            // 000000003C70: 245D0A90
	v_and_b32_e32 v47, 0xffff0000, v133                        // 000000003C74: 265F0AFF FFFF0000
	v_max3_f32 v30, |v47|, |v46|, v30                          // 000000003C7C: D1D3031E 047A5D2F
	v_lshlrev_b32_e32 v46, 16, v134                            // 000000003C84: 245D0C90
	v_and_b32_e32 v47, 0xffff0000, v134                        // 000000003C88: 265F0CFF FFFF0000
	v_max3_f32 v30, |v47|, |v46|, v30                          // 000000003C90: D1D3031E 047A5D2F
	v_lshlrev_b32_e32 v46, 16, v135                            // 000000003C98: 245D0E90
	v_and_b32_e32 v47, 0xffff0000, v135                        // 000000003C9C: 265F0EFF FFFF0000
	v_max3_f32 v30, |v47|, |v46|, v30                          // 000000003CA4: D1D3031E 047A5D2F
	s_barrier                                                  // 000000003CAC: BF8A0000
	v_max_f32_dpp v31, v30, v30 quad_perm:[1,2,3,0] row_mask:0xf bank_mask:0xf// 000000003CB0: 163E3CFA FF00391E
	s_nop 1                                                    // 000000003CB8: BF800001
	v_max_f32_dpp v46, v31, v31 quad_perm:[2,3,0,1] row_mask:0xf bank_mask:0xf// 000000003CBC: 165C3EFA FF004E1F
	s_nop 1                                                    // 000000003CC4: BF800001
	v_max_f32_dpp v30, v46, v46 row_half_mirror row_mask:0xf bank_mask:0xf// 000000003CC8: 163C5CFA FF01412E
	v_rcp_f32_e32 v46, v30                                     // 000000003CD0: 7E5C451E
	v_mov_b32_e32 v47, 0x43e00000                              // 000000003CD4: 7E5E02FF 43E00000
	v_mul_f32_e32 v31, v47, v46                                // 000000003CDC: 0A3E5D2F
	v_mov_b32_e32 v30, v31                                     // 000000003CE0: 7E3C031F
	v_lshlrev_b32_e32 v46, 16, v128                            // 000000003CE4: 245D0090
	v_and_b32_e32 v47, 0xffff0000, v128                        // 000000003CE8: 265F00FF FFFF0000
	v_pk_mul_f32 v[46:47], v[46:47], v[30:31]                  // 000000003CF0: D3B1402E 18023D2E
	v_cvt_pk_fp8_f32 v128, v46, v47                            // 000000003CF8: D2A20080 00025F2E
	v_lshlrev_b32_e32 v46, 16, v129                            // 000000003D00: 245D0290
	v_and_b32_e32 v47, 0xffff0000, v129                        // 000000003D04: 265F02FF FFFF0000
	v_pk_mul_f32 v[46:47], v[46:47], v[30:31]                  // 000000003D0C: D3B1402E 18023D2E
	v_cvt_pk_fp8_f32 v128, v46, v47 op_sel:[0,0,1]             // 000000003D14: D2A24080 00025F2E
	v_lshlrev_b32_e32 v46, 16, v130                            // 000000003D1C: 245D0490
	v_and_b32_e32 v47, 0xffff0000, v130                        // 000000003D20: 265F04FF FFFF0000
	v_pk_mul_f32 v[46:47], v[46:47], v[30:31]                  // 000000003D28: D3B1402E 18023D2E
	v_cvt_pk_fp8_f32 v129, v46, v47                            // 000000003D30: D2A20081 00025F2E
	v_lshlrev_b32_e32 v46, 16, v131                            // 000000003D38: 245D0690
	v_and_b32_e32 v47, 0xffff0000, v131                        // 000000003D3C: 265F06FF FFFF0000
	v_pk_mul_f32 v[46:47], v[46:47], v[30:31]                  // 000000003D44: D3B1402E 18023D2E
	v_cvt_pk_fp8_f32 v129, v46, v47 op_sel:[0,0,1]             // 000000003D4C: D2A24081 00025F2E
	v_lshlrev_b32_e32 v46, 16, v132                            // 000000003D54: 245D0890
	v_and_b32_e32 v47, 0xffff0000, v132                        // 000000003D58: 265F08FF FFFF0000
	v_pk_mul_f32 v[46:47], v[46:47], v[30:31]                  // 000000003D60: D3B1402E 18023D2E
	v_cvt_pk_fp8_f32 v130, v46, v47                            // 000000003D68: D2A20082 00025F2E
	v_lshlrev_b32_e32 v46, 16, v133                            // 000000003D70: 245D0A90
	v_and_b32_e32 v47, 0xffff0000, v133                        // 000000003D74: 265F0AFF FFFF0000
	v_pk_mul_f32 v[46:47], v[46:47], v[30:31]                  // 000000003D7C: D3B1402E 18023D2E
	v_cvt_pk_fp8_f32 v130, v46, v47 op_sel:[0,0,1]             // 000000003D84: D2A24082 00025F2E
	v_lshlrev_b32_e32 v46, 16, v134                            // 000000003D8C: 245D0C90
	v_and_b32_e32 v47, 0xffff0000, v134                        // 000000003D90: 265F0CFF FFFF0000
	v_pk_mul_f32 v[46:47], v[46:47], v[30:31]                  // 000000003D98: D3B1402E 18023D2E
	v_cvt_pk_fp8_f32 v131, v46, v47                            // 000000003DA0: D2A20083 00025F2E
	v_lshlrev_b32_e32 v46, 16, v135                            // 000000003DA8: 245D0E90
	v_and_b32_e32 v47, 0xffff0000, v135                        // 000000003DAC: 265F0EFF FFFF0000
	v_pk_mul_f32 v[46:47], v[46:47], v[30:31]                  // 000000003DB4: D3B1402E 18023D2E
	v_cvt_pk_fp8_f32 v131, v46, v47 op_sel:[0,0,1]             // 000000003DBC: D2A24083 00025F2E
	v_lshlrev_b32_e32 v46, 4, v0                               // 000000003DC4: 245C0084
	v_add_u32_e64 v46, v46, s51                                // 000000003DC8: D134002E 0000672E
	ds_write_b128 v46, v[128:131]                              // 000000003DD0: D9BE0000 0000802E
	v_rcp_f32_e32 v32, v31                                     // 000000003DD8: 7E40451F
	v_add_u32_e32 v46, 0, v33                                  // 000000003DDC: 685C4280
	s_mov_b64 s[60:61], exec                                   // 000000003DE0: BEBC017E
	s_mov_b32 s62, 0xf0f0f0f                                   // 000000003DE4: BEBE00FF 0F0F0F0F
	s_mov_b32 s63, 0xf0f0f0f                                   // 000000003DEC: BEBF00FF 0F0F0F0F
	s_mov_b64 exec, s[62:63]                                   // 000000003DF4: BEFE013E
	ds_write_b32 v46, v32 offset:9728                          // 000000003DF8: D81A2600 0000202E
	s_mov_b64 exec, s[60:61]                                   // 000000003E00: BEFE013C
	v_mul_f32_dpp v46, v24, v15 row_newbcast:0 row_mask:0xf bank_mask:0xf// 000000003E04: 0A5C1EFA FF015018
	v_mov_b32_e32 v47, v46                                     // 000000003E0C: 7E5E032E
	v_pk_fma_f32 v[64:65], v[104:105], v[46:47], v[64:65]      // 000000003E10: D3B04040 1D025D68
	v_pk_fma_f32 v[66:67], v[106:107], v[46:47], v[66:67]      // 000000003E18: D3B04042 1D0A5D6A
	v_pk_fma_f32 v[68:69], v[108:109], v[46:47], v[68:69]      // 000000003E20: D3B04044 1D125D6C
	v_pk_fma_f32 v[70:71], v[110:111], v[46:47], v[70:71]      // 000000003E28: D3B04046 1D1A5D6E
	s_waitcnt vmcnt(23)                                        // 000000003E30: BF8C4F77
	v_mfma_f32_16x16x128_f8f6f4 v[104:107], a[48:55], v[120:127], 0// 000000003E34: D3AD0068 0A02F130
	s_waitcnt lgkmcnt(0)                                       // 000000003E3C: BF8CC07F
	s_barrier                                                  // 000000003E40: BF8A0000
	ds_read_b128 v[128:131], v2 offset:5376                    // 000000003E44: D9FE1500 80000002
	ds_read_b128 v[132:135], v2 offset:5440                    // 000000003E4C: D9FE1540 84000002
	ds_read_b128 v[136:139], v2 offset:5888                    // 000000003E54: D9FE1700 88000002
	ds_read_b128 v[140:143], v2 offset:5952                    // 000000003E5C: D9FE1740 8C000002
	ds_read_b32 v17, v3 offset:9728                            // 000000003E64: D86C2600 11000003
	ds_read_b32 v18, v3 offset:9984                            // 000000003E6C: D86C2700 12000003
	s_waitcnt vmcnt(21)                                        // 000000003E74: BF8C4F75
	v_mfma_f32_16x16x128_f8f6f4 v[108:111], a[56:63], v[120:127], 0// 000000003E78: D3AD006C 0A02F138
	buffer_load_dwordx4 a[176:179], v36, s[92:95], 0 offen offset:2048// 000000003E80: E05C1800 8097B024
	buffer_load_dwordx4 a[180:183], v36, s[92:95], 0 offen offset:3072// 000000003E88: E05C1C00 8097B424
	buffer_load_dwordx4 a[184:187], v37, s[92:95], 0 offen offset:2048// 000000003E90: E05C1800 8097B825
	buffer_load_dwordx4 a[188:191], v37, s[92:95], 0 offen offset:3072// 000000003E98: E05C1C00 8097BC25
	v_mul_f32_dpp v46, v24, v16 row_newbcast:2 row_mask:0xf bank_mask:0xf// 000000003EA0: 0A5C20FA FF015218
	v_mov_b32_e32 v47, v46                                     // 000000003EA8: 7E5E032E
	v_pk_fma_f32 v[64:65], v[104:105], v[46:47], v[64:65]      // 000000003EAC: D3B04040 1D025D68
	v_pk_fma_f32 v[66:67], v[106:107], v[46:47], v[66:67]      // 000000003EB4: D3B04042 1D0A5D6A
	v_pk_fma_f32 v[68:69], v[108:109], v[46:47], v[68:69]      // 000000003EBC: D3B04044 1D125D6C
	v_pk_fma_f32 v[70:71], v[110:111], v[46:47], v[70:71]      // 000000003EC4: D3B04046 1D1A5D6E
	s_add_u32 s60, 0x300, s80                                  // 000000003ECC: 803C50FF 00000300
	s_cmp_lt_u32 s60, s81                                      // 000000003ED4: BF0A513C
	s_cselect_b32 s57, s57, 0                                  // 000000003ED8: 85398039
	s_add_u32 s60, 0x300, s80                                  // 000000003EDC: 803C50FF 00000300
	s_cmp_lt_u32 s60, s81                                      // 000000003EE4: BF0A513C
	s_cselect_b32 s58, s58, 0                                  // 000000003EE8: 853A803A
	s_cselect_b32 s90, s90, 0                                  // 000000003EEC: 855A805A
	s_add_u32 s20, s57, s20                                    // 000000003EF0: 80141439
	s_addc_u32 s21, 0, s21                                     // 000000003EF4: 82151580
	s_add_u32 s24, s58, s24                                    // 000000003EF8: 8018183A
	s_addc_u32 s25, 0, s25                                     // 000000003EFC: 82191980
	s_add_u32 s92, s90, s92                                    // 000000003F00: 805C5C5A
	s_addc_u32 s93, 0, s93                                     // 000000003F04: 825D5D80
	s_addk_i32 s80, 0x100                                      // 000000003F08: B7500100
	s_cmp_lt_i32 s80, s81                                      // 000000003F0C: BF045150
	s_cbranch_scc0 label_066E                                  // 000000003F10: BF840229
	s_waitcnt vmcnt(35) lgkmcnt(0)                             // 000000003F14: BF8C8073
	s_barrier                                                  // 000000003F18: BF8A0000
	v_mfma_f32_16x16x128_f8f6f4 v[104:107], a[64:71], v[128:135], 0// 000000003F1C: D3AD0068 0A030140
	s_waitcnt vmcnt(27)                                        // 000000003F24: BF8C4F7B
	v_mfma_f32_16x16x128_f8f6f4 v[108:111], a[72:79], v[128:135], 0// 000000003F28: D3AD006C 0A030148
	buffer_load_dwordx4 v[112:115], v34, s[20:23], 0 offen     // 000000003F30: E05C1000 80057022
	buffer_load_dwordx4 v[116:119], v34, s[20:23], 0 offen offset:16// 000000003F38: E05C1010 80057422
	buffer_load_dword v21, v11, s[32:35], 0 offen              // 000000003F40: E0501000 8008150B
	buffer_load_dword v24, v13, s[32:35], 0 offen              // 000000003F48: E0501000 8008180D
	buffer_load_dwordx4 a[0:3], v36, s[24:27], 0 offen         // 000000003F50: E05C1000 80860024
	buffer_load_dwordx4 a[4:7], v36, s[24:27], 0 offen offset:1024// 000000003F58: E05C1400 80860424
	buffer_load_dwordx4 a[8:11], v37, s[24:27], 0 offen        // 000000003F60: E05C1000 80860825
	buffer_load_dwordx4 a[12:15], v37, s[24:27], 0 offen offset:1024// 000000003F68: E05C1400 80860C25
	v_mul_f32_dpp v46, v22, v17 row_newbcast:0 row_mask:0xf bank_mask:0xf// 000000003F70: 0A5C22FA FF015016
	v_mov_b32_e32 v47, v46                                     // 000000003F78: 7E5E032E
	v_pk_fma_f32 v[96:97], v[104:105], v[46:47], v[96:97]      // 000000003F7C: D3B04060 1D825D68
	v_pk_fma_f32 v[98:99], v[106:107], v[46:47], v[98:99]      // 000000003F84: D3B04062 1D8A5D6A
	v_pk_fma_f32 v[100:101], v[108:109], v[46:47], v[100:101]  // 000000003F8C: D3B04064 1D925D6C
	v_pk_fma_f32 v[102:103], v[110:111], v[46:47], v[102:103]  // 000000003F94: D3B04066 1D9A5D6E
	s_waitcnt vmcnt(33)                                        // 000000003F9C: BF8C8F71
	v_mfma_f32_16x16x128_f8f6f4 v[104:107], a[80:87], v[136:143], 0// 000000003FA0: D3AD0068 0A031150
	s_waitcnt vmcnt(31)                                        // 000000003FA8: BF8C4F7F
	v_mfma_f32_16x16x128_f8f6f4 v[108:111], a[88:95], v[136:143], 0// 000000003FAC: D3AD006C 0A031158
	buffer_load_dwordx4 a[16:19], v36, s[24:27], 0 offen offset:2048// 000000003FB4: E05C1800 80861024
	buffer_load_dwordx4 a[20:23], v36, s[24:27], 0 offen offset:3072// 000000003FBC: E05C1C00 80861424
	buffer_load_dwordx4 a[24:27], v37, s[24:27], 0 offen offset:2048// 000000003FC4: E05C1800 80861825
	buffer_load_dwordx4 a[28:31], v37, s[24:27], 0 offen offset:3072// 000000003FCC: E05C1C00 80861C25
	v_mul_f32_dpp v46, v22, v18 row_newbcast:2 row_mask:0xf bank_mask:0xf// 000000003FD4: 0A5C24FA FF015216
	v_mov_b32_e32 v47, v46                                     // 000000003FDC: 7E5E032E
	v_pk_fma_f32 v[96:97], v[104:105], v[46:47], v[96:97]      // 000000003FE0: D3B04060 1D825D68
	v_pk_fma_f32 v[98:99], v[106:107], v[46:47], v[98:99]      // 000000003FE8: D3B04062 1D8A5D6A
	v_pk_fma_f32 v[100:101], v[108:109], v[46:47], v[100:101]  // 000000003FF0: D3B04064 1D925D6C
	v_pk_fma_f32 v[102:103], v[110:111], v[46:47], v[102:103]  // 000000003FF8: D3B04066 1D9A5D6E
	s_add_u32 s60, 0x300, s80                                  // 000000004000: 803C50FF 00000300
	s_cmp_lt_u32 s60, s81                                      // 000000004008: BF0A513C
	s_cselect_b32 s4, s4, 0                                    // 00000000400C: 85048004
	s_add_u32 s32, s4, s32                                     // 000000004010: 80202004
	s_addc_u32 s33, 0, s33                                     // 000000004014: 82212180
	s_waitcnt vmcnt(21)                                        // 000000004018: BF8C4F75
	s_barrier                                                  // 00000000401C: BF8A0000
	v_mfma_f32_16x16x128_f8f6f4 v[104:107], a[96:103], v[128:135], 0// 000000004020: D3AD0068 0A030160
	s_waitcnt vmcnt(21)                                        // 000000004028: BF8C4F75
	v_mfma_f32_16x16x128_f8f6f4 v[108:111], a[104:111], v[128:135], 0// 00000000402C: D3AD006C 0A030168
	buffer_load_dwordx4 a[32:35], v36, s[92:95], 0 offen       // 000000004034: E05C1000 80972024
	buffer_load_dwordx4 a[36:39], v36, s[92:95], 0 offen offset:1024// 00000000403C: E05C1400 80972424
	buffer_load_dwordx4 a[40:43], v37, s[92:95], 0 offen       // 000000004044: E05C1000 80972825
	buffer_load_dwordx4 a[44:47], v37, s[92:95], 0 offen offset:1024// 00000000404C: E05C1400 80972C25
	s_waitcnt vmcnt(22)                                        // 000000004054: BF8C4F76
	v_mov_b32_e32 v30, 0                                       // 000000004058: 7E3C0280
	v_lshlrev_b32_e32 v46, 16, v144                            // 00000000405C: 245D2090
	v_and_b32_e32 v47, 0xffff0000, v144                        // 000000004060: 265F20FF FFFF0000
	v_max3_f32 v30, |v47|, |v46|, v30                          // 000000004068: D1D3031E 047A5D2F
	v_lshlrev_b32_e32 v46, 16, v145                            // 000000004070: 245D2290
	v_and_b32_e32 v47, 0xffff0000, v145                        // 000000004074: 265F22FF FFFF0000
	v_max3_f32 v30, |v47|, |v46|, v30                          // 00000000407C: D1D3031E 047A5D2F
	v_lshlrev_b32_e32 v46, 16, v146                            // 000000004084: 245D2490
	v_and_b32_e32 v47, 0xffff0000, v146                        // 000000004088: 265F24FF FFFF0000
	v_max3_f32 v30, |v47|, |v46|, v30                          // 000000004090: D1D3031E 047A5D2F
	v_lshlrev_b32_e32 v46, 16, v147                            // 000000004098: 245D2690
	v_and_b32_e32 v47, 0xffff0000, v147                        // 00000000409C: 265F26FF FFFF0000
	v_max3_f32 v30, |v47|, |v46|, v30                          // 0000000040A4: D1D3031E 047A5D2F
	v_lshlrev_b32_e32 v46, 16, v148                            // 0000000040AC: 245D2890
	v_and_b32_e32 v47, 0xffff0000, v148                        // 0000000040B0: 265F28FF FFFF0000
	v_max3_f32 v30, |v47|, |v46|, v30                          // 0000000040B8: D1D3031E 047A5D2F
	v_lshlrev_b32_e32 v46, 16, v149                            // 0000000040C0: 245D2A90
	v_and_b32_e32 v47, 0xffff0000, v149                        // 0000000040C4: 265F2AFF FFFF0000
	v_max3_f32 v30, |v47|, |v46|, v30                          // 0000000040CC: D1D3031E 047A5D2F
	v_lshlrev_b32_e32 v46, 16, v150                            // 0000000040D4: 245D2C90
	v_and_b32_e32 v47, 0xffff0000, v150                        // 0000000040D8: 265F2CFF FFFF0000
	v_max3_f32 v30, |v47|, |v46|, v30                          // 0000000040E0: D1D3031E 047A5D2F
	v_lshlrev_b32_e32 v46, 16, v151                            // 0000000040E8: 245D2E90
	v_and_b32_e32 v47, 0xffff0000, v151                        // 0000000040EC: 265F2EFF FFFF0000
	v_max3_f32 v30, |v47|, |v46|, v30                          // 0000000040F4: D1D3031E 047A5D2F
	s_barrier                                                  // 0000000040FC: BF8A0000
	v_max_f32_dpp v31, v30, v30 quad_perm:[1,2,3,0] row_mask:0xf bank_mask:0xf// 000000004100: 163E3CFA FF00391E
	s_nop 1                                                    // 000000004108: BF800001
	v_max_f32_dpp v46, v31, v31 quad_perm:[2,3,0,1] row_mask:0xf bank_mask:0xf// 00000000410C: 165C3EFA FF004E1F
	s_nop 1                                                    // 000000004114: BF800001
	v_max_f32_dpp v30, v46, v46 row_half_mirror row_mask:0xf bank_mask:0xf// 000000004118: 163C5CFA FF01412E
	v_rcp_f32_e32 v46, v30                                     // 000000004120: 7E5C451E
	v_mov_b32_e32 v47, 0x43e00000                              // 000000004124: 7E5E02FF 43E00000
	v_mul_f32_e32 v31, v47, v46                                // 00000000412C: 0A3E5D2F
	v_mov_b32_e32 v30, v31                                     // 000000004130: 7E3C031F
	v_lshlrev_b32_e32 v46, 16, v144                            // 000000004134: 245D2090
	v_and_b32_e32 v47, 0xffff0000, v144                        // 000000004138: 265F20FF FFFF0000
	v_pk_mul_f32 v[46:47], v[46:47], v[30:31]                  // 000000004140: D3B1402E 18023D2E
	v_cvt_pk_fp8_f32 v144, v46, v47                            // 000000004148: D2A20090 00025F2E
	v_lshlrev_b32_e32 v46, 16, v145                            // 000000004150: 245D2290
	v_and_b32_e32 v47, 0xffff0000, v145                        // 000000004154: 265F22FF FFFF0000
	v_pk_mul_f32 v[46:47], v[46:47], v[30:31]                  // 00000000415C: D3B1402E 18023D2E
	v_cvt_pk_fp8_f32 v144, v46, v47 op_sel:[0,0,1]             // 000000004164: D2A24090 00025F2E
	v_lshlrev_b32_e32 v46, 16, v146                            // 00000000416C: 245D2490
	v_and_b32_e32 v47, 0xffff0000, v146                        // 000000004170: 265F24FF FFFF0000
	v_pk_mul_f32 v[46:47], v[46:47], v[30:31]                  // 000000004178: D3B1402E 18023D2E
	v_cvt_pk_fp8_f32 v145, v46, v47                            // 000000004180: D2A20091 00025F2E
	v_lshlrev_b32_e32 v46, 16, v147                            // 000000004188: 245D2690
	v_and_b32_e32 v47, 0xffff0000, v147                        // 00000000418C: 265F26FF FFFF0000
	v_pk_mul_f32 v[46:47], v[46:47], v[30:31]                  // 000000004194: D3B1402E 18023D2E
	v_cvt_pk_fp8_f32 v145, v46, v47 op_sel:[0,0,1]             // 00000000419C: D2A24091 00025F2E
	v_lshlrev_b32_e32 v46, 16, v148                            // 0000000041A4: 245D2890
	v_and_b32_e32 v47, 0xffff0000, v148                        // 0000000041A8: 265F28FF FFFF0000
	v_pk_mul_f32 v[46:47], v[46:47], v[30:31]                  // 0000000041B0: D3B1402E 18023D2E
	v_cvt_pk_fp8_f32 v146, v46, v47                            // 0000000041B8: D2A20092 00025F2E
	v_lshlrev_b32_e32 v46, 16, v149                            // 0000000041C0: 245D2A90
	v_and_b32_e32 v47, 0xffff0000, v149                        // 0000000041C4: 265F2AFF FFFF0000
	v_pk_mul_f32 v[46:47], v[46:47], v[30:31]                  // 0000000041CC: D3B1402E 18023D2E
	v_cvt_pk_fp8_f32 v146, v46, v47 op_sel:[0,0,1]             // 0000000041D4: D2A24092 00025F2E
	v_lshlrev_b32_e32 v46, 16, v150                            // 0000000041DC: 245D2C90
	v_and_b32_e32 v47, 0xffff0000, v150                        // 0000000041E0: 265F2CFF FFFF0000
	v_pk_mul_f32 v[46:47], v[46:47], v[30:31]                  // 0000000041E8: D3B1402E 18023D2E
	v_cvt_pk_fp8_f32 v147, v46, v47                            // 0000000041F0: D2A20093 00025F2E
	v_lshlrev_b32_e32 v46, 16, v151                            // 0000000041F8: 245D2E90
	v_and_b32_e32 v47, 0xffff0000, v151                        // 0000000041FC: 265F2EFF FFFF0000
	v_pk_mul_f32 v[46:47], v[46:47], v[30:31]                  // 000000004204: D3B1402E 18023D2E
	v_cvt_pk_fp8_f32 v147, v46, v47 op_sel:[0,0,1]             // 00000000420C: D2A24093 00025F2E
	v_lshlrev_b32_e32 v46, 4, v0                               // 000000004214: 245C0084
	v_add_u32_e64 v46, v46, s52                                // 000000004218: D134002E 0000692E
	ds_write_b128 v46, v[144:147]                              // 000000004220: D9BE0000 0000902E
	v_rcp_f32_e32 v32, v31                                     // 000000004228: 7E40451F
	v_add_u32_e32 v46, 0, v33                                  // 00000000422C: 685C4280
	s_mov_b64 s[60:61], exec                                   // 000000004230: BEBC017E
	s_mov_b32 s62, 0xf0f0f0f                                   // 000000004234: BEBE00FF 0F0F0F0F
	s_mov_b32 s63, 0xf0f0f0f                                   // 00000000423C: BEBF00FF 0F0F0F0F
	s_mov_b64 exec, s[62:63]                                   // 000000004244: BEFE013E
	ds_write_b32 v46, v32 offset:15104                         // 000000004248: D81A3B00 0000202E
	s_mov_b64 exec, s[60:61]                                   // 000000004250: BEFE013C
	v_mul_f32_dpp v46, v25, v17 row_newbcast:0 row_mask:0xf bank_mask:0xf// 000000004254: 0A5C22FA FF015019
	v_mov_b32_e32 v47, v46                                     // 00000000425C: 7E5E032E
	v_pk_fma_f32 v[64:65], v[104:105], v[46:47], v[64:65]      // 000000004260: D3B04040 1D025D68
	v_pk_fma_f32 v[66:67], v[106:107], v[46:47], v[66:67]      // 000000004268: D3B04042 1D0A5D6A
	v_pk_fma_f32 v[68:69], v[108:109], v[46:47], v[68:69]      // 000000004270: D3B04044 1D125D6C
	v_pk_fma_f32 v[70:71], v[110:111], v[46:47], v[70:71]      // 000000004278: D3B04046 1D1A5D6E
	s_waitcnt vmcnt(23)                                        // 000000004280: BF8C4F77
	v_mfma_f32_16x16x128_f8f6f4 v[104:107], a[112:119], v[136:143], 0// 000000004284: D3AD0068 0A031170
	s_waitcnt lgkmcnt(0)                                       // 00000000428C: BF8CC07F
	s_barrier                                                  // 000000004290: BF8A0000
	ds_read_b128 v[144:147], v2 offset:10752                   // 000000004294: D9FE2A00 90000002
	ds_read_b128 v[148:151], v2 offset:10816                   // 00000000429C: D9FE2A40 94000002
	ds_read_b128 v[152:155], v2 offset:11264                   // 0000000042A4: D9FE2C00 98000002
	ds_read_b128 v[156:159], v2 offset:11328                   // 0000000042AC: D9FE2C40 9C000002
	ds_read_b32 v19, v3 offset:15104                           // 0000000042B4: D86C3B00 13000003
	ds_read_b32 v20, v3 offset:15360                           // 0000000042BC: D86C3C00 14000003
	s_waitcnt vmcnt(21)                                        // 0000000042C4: BF8C4F75
	v_mfma_f32_16x16x128_f8f6f4 v[108:111], a[120:127], v[136:143], 0// 0000000042C8: D3AD006C 0A031178
	buffer_load_dwordx4 a[48:51], v36, s[92:95], 0 offen offset:2048// 0000000042D0: E05C1800 80973024
	buffer_load_dwordx4 a[52:55], v36, s[92:95], 0 offen offset:3072// 0000000042D8: E05C1C00 80973424
	buffer_load_dwordx4 a[56:59], v37, s[92:95], 0 offen offset:2048// 0000000042E0: E05C1800 80973825
	buffer_load_dwordx4 a[60:63], v37, s[92:95], 0 offen offset:3072// 0000000042E8: E05C1C00 80973C25
	v_mul_f32_dpp v46, v25, v18 row_newbcast:2 row_mask:0xf bank_mask:0xf// 0000000042F0: 0A5C24FA FF015219
	v_mov_b32_e32 v47, v46                                     // 0000000042F8: 7E5E032E
	v_pk_fma_f32 v[64:65], v[104:105], v[46:47], v[64:65]      // 0000000042FC: D3B04040 1D025D68
	v_pk_fma_f32 v[66:67], v[106:107], v[46:47], v[66:67]      // 000000004304: D3B04042 1D0A5D6A
	v_pk_fma_f32 v[68:69], v[108:109], v[46:47], v[68:69]      // 00000000430C: D3B04044 1D125D6C
	v_pk_fma_f32 v[70:71], v[110:111], v[46:47], v[70:71]      // 000000004314: D3B04046 1D1A5D6E
	s_add_u32 s60, 0x300, s80                                  // 00000000431C: 803C50FF 00000300
	s_cmp_lt_u32 s60, s81                                      // 000000004324: BF0A513C
	s_cselect_b32 s57, s57, 0                                  // 000000004328: 85398039
	s_add_u32 s60, 0x300, s80                                  // 00000000432C: 803C50FF 00000300
	s_cmp_lt_u32 s60, s81                                      // 000000004334: BF0A513C
	s_cselect_b32 s58, s58, 0                                  // 000000004338: 853A803A
	s_cselect_b32 s90, s90, 0                                  // 00000000433C: 855A805A
	s_add_u32 s20, s57, s20                                    // 000000004340: 80141439
	s_addc_u32 s21, 0, s21                                     // 000000004344: 82151580
	s_add_u32 s24, s58, s24                                    // 000000004348: 8018183A
	s_addc_u32 s25, 0, s25                                     // 00000000434C: 82191980
	s_add_u32 s92, s90, s92                                    // 000000004350: 805C5C5A
	s_addc_u32 s93, 0, s93                                     // 000000004354: 825D5D80
	s_addk_i32 s80, 0x100                                      // 000000004358: B7500100
	s_cmp_lt_i32 s80, s81                                      // 00000000435C: BF045150
	s_cbranch_scc0 label_066E                                  // 000000004360: BF840115
	s_waitcnt vmcnt(35) lgkmcnt(0)                             // 000000004364: BF8C8073
	s_barrier                                                  // 000000004368: BF8A0000
	v_mfma_f32_16x16x128_f8f6f4 v[104:107], a[128:135], v[144:151], 0// 00000000436C: D3AD0068 0A032180
	s_waitcnt vmcnt(27)                                        // 000000004374: BF8C4F7B
	v_mfma_f32_16x16x128_f8f6f4 v[108:111], a[136:143], v[144:151], 0// 000000004378: D3AD006C 0A032188
	buffer_load_dwordx4 v[128:131], v34, s[20:23], 0 offen     // 000000004380: E05C1000 80058022
	buffer_load_dwordx4 v[132:135], v34, s[20:23], 0 offen offset:16// 000000004388: E05C1010 80058422
	buffer_load_dword v22, v11, s[32:35], 0 offen              // 000000004390: E0501000 8008160B
	buffer_load_dword v25, v13, s[32:35], 0 offen              // 000000004398: E0501000 8008190D
	buffer_load_dwordx4 a[64:67], v36, s[24:27], 0 offen       // 0000000043A0: E05C1000 80864024
	buffer_load_dwordx4 a[68:71], v36, s[24:27], 0 offen offset:1024// 0000000043A8: E05C1400 80864424
	buffer_load_dwordx4 a[72:75], v37, s[24:27], 0 offen       // 0000000043B0: E05C1000 80864825
	buffer_load_dwordx4 a[76:79], v37, s[24:27], 0 offen offset:1024// 0000000043B8: E05C1400 80864C25
	v_mul_f32_dpp v46, v23, v19 row_newbcast:0 row_mask:0xf bank_mask:0xf// 0000000043C0: 0A5C26FA FF015017
	v_mov_b32_e32 v47, v46                                     // 0000000043C8: 7E5E032E
	v_pk_fma_f32 v[96:97], v[104:105], v[46:47], v[96:97]      // 0000000043CC: D3B04060 1D825D68
	v_pk_fma_f32 v[98:99], v[106:107], v[46:47], v[98:99]      // 0000000043D4: D3B04062 1D8A5D6A
	v_pk_fma_f32 v[100:101], v[108:109], v[46:47], v[100:101]  // 0000000043DC: D3B04064 1D925D6C
	v_pk_fma_f32 v[102:103], v[110:111], v[46:47], v[102:103]  // 0000000043E4: D3B04066 1D9A5D6E
	s_waitcnt vmcnt(33)                                        // 0000000043EC: BF8C8F71
	v_mfma_f32_16x16x128_f8f6f4 v[104:107], a[144:151], v[152:159], 0// 0000000043F0: D3AD0068 0A033190
	s_waitcnt vmcnt(31)                                        // 0000000043F8: BF8C4F7F
	v_mfma_f32_16x16x128_f8f6f4 v[108:111], a[152:159], v[152:159], 0// 0000000043FC: D3AD006C 0A033198
	buffer_load_dwordx4 a[80:83], v36, s[24:27], 0 offen offset:2048// 000000004404: E05C1800 80865024
	buffer_load_dwordx4 a[84:87], v36, s[24:27], 0 offen offset:3072// 00000000440C: E05C1C00 80865424
	buffer_load_dwordx4 a[88:91], v37, s[24:27], 0 offen offset:2048// 000000004414: E05C1800 80865825
	buffer_load_dwordx4 a[92:95], v37, s[24:27], 0 offen offset:3072// 00000000441C: E05C1C00 80865C25
	v_mul_f32_dpp v46, v23, v20 row_newbcast:2 row_mask:0xf bank_mask:0xf// 000000004424: 0A5C28FA FF015217
	v_mov_b32_e32 v47, v46                                     // 00000000442C: 7E5E032E
	v_pk_fma_f32 v[96:97], v[104:105], v[46:47], v[96:97]      // 000000004430: D3B04060 1D825D68
	v_pk_fma_f32 v[98:99], v[106:107], v[46:47], v[98:99]      // 000000004438: D3B04062 1D8A5D6A
	v_pk_fma_f32 v[100:101], v[108:109], v[46:47], v[100:101]  // 000000004440: D3B04064 1D925D6C
	v_pk_fma_f32 v[102:103], v[110:111], v[46:47], v[102:103]  // 000000004448: D3B04066 1D9A5D6E
	s_add_u32 s60, 0x300, s80                                  // 000000004450: 803C50FF 00000300
	s_cmp_lt_u32 s60, s81                                      // 000000004458: BF0A513C
	s_cselect_b32 s4, s4, 0                                    // 00000000445C: 85048004
	s_add_u32 s32, s4, s32                                     // 000000004460: 80202004
	s_addc_u32 s33, 0, s33                                     // 000000004464: 82212180
	s_waitcnt vmcnt(21)                                        // 000000004468: BF8C4F75
	s_barrier                                                  // 00000000446C: BF8A0000
	v_mfma_f32_16x16x128_f8f6f4 v[104:107], a[160:167], v[144:151], 0// 000000004470: D3AD0068 0A0321A0
	s_waitcnt vmcnt(21)                                        // 000000004478: BF8C4F75
	v_mfma_f32_16x16x128_f8f6f4 v[108:111], a[168:175], v[144:151], 0// 00000000447C: D3AD006C 0A0321A8
	buffer_load_dwordx4 a[96:99], v36, s[92:95], 0 offen       // 000000004484: E05C1000 80976024
	buffer_load_dwordx4 a[100:103], v36, s[92:95], 0 offen offset:1024// 00000000448C: E05C1400 80976424
	buffer_load_dwordx4 a[104:107], v37, s[92:95], 0 offen     // 000000004494: E05C1000 80976825
	buffer_load_dwordx4 a[108:111], v37, s[92:95], 0 offen offset:1024// 00000000449C: E05C1400 80976C25
	s_waitcnt vmcnt(22)                                        // 0000000044A4: BF8C4F76
	v_mov_b32_e32 v30, 0                                       // 0000000044A8: 7E3C0280
	v_lshlrev_b32_e32 v46, 16, v112                            // 0000000044AC: 245CE090
	v_and_b32_e32 v47, 0xffff0000, v112                        // 0000000044B0: 265EE0FF FFFF0000
	v_max3_f32 v30, |v47|, |v46|, v30                          // 0000000044B8: D1D3031E 047A5D2F
	v_lshlrev_b32_e32 v46, 16, v113                            // 0000000044C0: 245CE290
	v_and_b32_e32 v47, 0xffff0000, v113                        // 0000000044C4: 265EE2FF FFFF0000
	v_max3_f32 v30, |v47|, |v46|, v30                          // 0000000044CC: D1D3031E 047A5D2F
	v_lshlrev_b32_e32 v46, 16, v114                            // 0000000044D4: 245CE490
	v_and_b32_e32 v47, 0xffff0000, v114                        // 0000000044D8: 265EE4FF FFFF0000
	v_max3_f32 v30, |v47|, |v46|, v30                          // 0000000044E0: D1D3031E 047A5D2F
	v_lshlrev_b32_e32 v46, 16, v115                            // 0000000044E8: 245CE690
	v_and_b32_e32 v47, 0xffff0000, v115                        // 0000000044EC: 265EE6FF FFFF0000
	v_max3_f32 v30, |v47|, |v46|, v30                          // 0000000044F4: D1D3031E 047A5D2F
	v_lshlrev_b32_e32 v46, 16, v116                            // 0000000044FC: 245CE890
	v_and_b32_e32 v47, 0xffff0000, v116                        // 000000004500: 265EE8FF FFFF0000
	v_max3_f32 v30, |v47|, |v46|, v30                          // 000000004508: D1D3031E 047A5D2F
	v_lshlrev_b32_e32 v46, 16, v117                            // 000000004510: 245CEA90
	v_and_b32_e32 v47, 0xffff0000, v117                        // 000000004514: 265EEAFF FFFF0000
	v_max3_f32 v30, |v47|, |v46|, v30                          // 00000000451C: D1D3031E 047A5D2F
	v_lshlrev_b32_e32 v46, 16, v118                            // 000000004524: 245CEC90
	v_and_b32_e32 v47, 0xffff0000, v118                        // 000000004528: 265EECFF FFFF0000
	v_max3_f32 v30, |v47|, |v46|, v30                          // 000000004530: D1D3031E 047A5D2F
	v_lshlrev_b32_e32 v46, 16, v119                            // 000000004538: 245CEE90
	v_and_b32_e32 v47, 0xffff0000, v119                        // 00000000453C: 265EEEFF FFFF0000
	v_max3_f32 v30, |v47|, |v46|, v30                          // 000000004544: D1D3031E 047A5D2F
	s_barrier                                                  // 00000000454C: BF8A0000
	v_max_f32_dpp v31, v30, v30 quad_perm:[1,2,3,0] row_mask:0xf bank_mask:0xf// 000000004550: 163E3CFA FF00391E
	s_nop 1                                                    // 000000004558: BF800001
	v_max_f32_dpp v46, v31, v31 quad_perm:[2,3,0,1] row_mask:0xf bank_mask:0xf// 00000000455C: 165C3EFA FF004E1F
	s_nop 1                                                    // 000000004564: BF800001
	v_max_f32_dpp v30, v46, v46 row_half_mirror row_mask:0xf bank_mask:0xf// 000000004568: 163C5CFA FF01412E
	v_rcp_f32_e32 v46, v30                                     // 000000004570: 7E5C451E
	v_mov_b32_e32 v47, 0x43e00000                              // 000000004574: 7E5E02FF 43E00000
	v_mul_f32_e32 v31, v47, v46                                // 00000000457C: 0A3E5D2F
	v_mov_b32_e32 v30, v31                                     // 000000004580: 7E3C031F
	v_lshlrev_b32_e32 v46, 16, v112                            // 000000004584: 245CE090
	v_and_b32_e32 v47, 0xffff0000, v112                        // 000000004588: 265EE0FF FFFF0000
	v_pk_mul_f32 v[46:47], v[46:47], v[30:31]                  // 000000004590: D3B1402E 18023D2E
	v_cvt_pk_fp8_f32 v112, v46, v47                            // 000000004598: D2A20070 00025F2E
	v_lshlrev_b32_e32 v46, 16, v113                            // 0000000045A0: 245CE290
	v_and_b32_e32 v47, 0xffff0000, v113                        // 0000000045A4: 265EE2FF FFFF0000
	v_pk_mul_f32 v[46:47], v[46:47], v[30:31]                  // 0000000045AC: D3B1402E 18023D2E
	v_cvt_pk_fp8_f32 v112, v46, v47 op_sel:[0,0,1]             // 0000000045B4: D2A24070 00025F2E
	v_lshlrev_b32_e32 v46, 16, v114                            // 0000000045BC: 245CE490
	v_and_b32_e32 v47, 0xffff0000, v114                        // 0000000045C0: 265EE4FF FFFF0000
	v_pk_mul_f32 v[46:47], v[46:47], v[30:31]                  // 0000000045C8: D3B1402E 18023D2E
	v_cvt_pk_fp8_f32 v113, v46, v47                            // 0000000045D0: D2A20071 00025F2E
	v_lshlrev_b32_e32 v46, 16, v115                            // 0000000045D8: 245CE690
	v_and_b32_e32 v47, 0xffff0000, v115                        // 0000000045DC: 265EE6FF FFFF0000
	v_pk_mul_f32 v[46:47], v[46:47], v[30:31]                  // 0000000045E4: D3B1402E 18023D2E
	v_cvt_pk_fp8_f32 v113, v46, v47 op_sel:[0,0,1]             // 0000000045EC: D2A24071 00025F2E
	v_lshlrev_b32_e32 v46, 16, v116                            // 0000000045F4: 245CE890
	v_and_b32_e32 v47, 0xffff0000, v116                        // 0000000045F8: 265EE8FF FFFF0000
	v_pk_mul_f32 v[46:47], v[46:47], v[30:31]                  // 000000004600: D3B1402E 18023D2E
	v_cvt_pk_fp8_f32 v114, v46, v47                            // 000000004608: D2A20072 00025F2E
	v_lshlrev_b32_e32 v46, 16, v117                            // 000000004610: 245CEA90
	v_and_b32_e32 v47, 0xffff0000, v117                        // 000000004614: 265EEAFF FFFF0000
	v_pk_mul_f32 v[46:47], v[46:47], v[30:31]                  // 00000000461C: D3B1402E 18023D2E
	v_cvt_pk_fp8_f32 v114, v46, v47 op_sel:[0,0,1]             // 000000004624: D2A24072 00025F2E
	v_lshlrev_b32_e32 v46, 16, v118                            // 00000000462C: 245CEC90
	v_and_b32_e32 v47, 0xffff0000, v118                        // 000000004630: 265EECFF FFFF0000
	v_pk_mul_f32 v[46:47], v[46:47], v[30:31]                  // 000000004638: D3B1402E 18023D2E
	v_cvt_pk_fp8_f32 v115, v46, v47                            // 000000004640: D2A20073 00025F2E
	v_lshlrev_b32_e32 v46, 16, v119                            // 000000004648: 245CEE90
	v_and_b32_e32 v47, 0xffff0000, v119                        // 00000000464C: 265EEEFF FFFF0000
	v_pk_mul_f32 v[46:47], v[46:47], v[30:31]                  // 000000004654: D3B1402E 18023D2E
	v_cvt_pk_fp8_f32 v115, v46, v47 op_sel:[0,0,1]             // 00000000465C: D2A24073 00025F2E
	v_lshlrev_b32_e32 v46, 4, v0                               // 000000004664: 245C0084
	v_add_u32_e64 v46, v46, s50                                // 000000004668: D134002E 0000652E
	ds_write_b128 v46, v[112:115]                              // 000000004670: D9BE0000 0000702E
	v_rcp_f32_e32 v32, v31                                     // 000000004678: 7E40451F
	v_add_u32_e32 v46, 0, v33                                  // 00000000467C: 685C4280
	s_mov_b64 s[60:61], exec                                   // 000000004680: BEBC017E
	s_mov_b32 s62, 0xf0f0f0f                                   // 000000004684: BEBE00FF 0F0F0F0F
	s_mov_b32 s63, 0xf0f0f0f                                   // 00000000468C: BEBF00FF 0F0F0F0F
	s_mov_b64 exec, s[62:63]                                   // 000000004694: BEFE013E
	ds_write_b32 v46, v32 offset:4352                          // 000000004698: D81A1100 0000202E
	s_mov_b64 exec, s[60:61]                                   // 0000000046A0: BEFE013C
	v_mul_f32_dpp v46, v26, v19 row_newbcast:0 row_mask:0xf bank_mask:0xf// 0000000046A4: 0A5C26FA FF01501A
	v_mov_b32_e32 v47, v46                                     // 0000000046AC: 7E5E032E
	v_pk_fma_f32 v[64:65], v[104:105], v[46:47], v[64:65]      // 0000000046B0: D3B04040 1D025D68
	v_pk_fma_f32 v[66:67], v[106:107], v[46:47], v[66:67]      // 0000000046B8: D3B04042 1D0A5D6A
	v_pk_fma_f32 v[68:69], v[108:109], v[46:47], v[68:69]      // 0000000046C0: D3B04044 1D125D6C
	v_pk_fma_f32 v[70:71], v[110:111], v[46:47], v[70:71]      // 0000000046C8: D3B04046 1D1A5D6E
	s_waitcnt vmcnt(23)                                        // 0000000046D0: BF8C4F77
	v_mfma_f32_16x16x128_f8f6f4 v[104:107], a[176:183], v[152:159], 0// 0000000046D4: D3AD0068 0A0331B0
	s_waitcnt lgkmcnt(0)                                       // 0000000046DC: BF8CC07F
	s_barrier                                                  // 0000000046E0: BF8A0000
	ds_read_b128 v[112:115], v2                                // 0000000046E4: D9FE0000 70000002
	ds_read_b128 v[116:119], v2 offset:64                      // 0000000046EC: D9FE0040 74000002
	ds_read_b128 v[120:123], v2 offset:512                     // 0000000046F4: D9FE0200 78000002
	ds_read_b128 v[124:127], v2 offset:576                     // 0000000046FC: D9FE0240 7C000002
	ds_read_b32 v15, v3 offset:4352                            // 000000004704: D86C1100 0F000003
	ds_read_b32 v16, v3 offset:4608                            // 00000000470C: D86C1200 10000003
	s_waitcnt vmcnt(21)                                        // 000000004714: BF8C4F75
	v_mfma_f32_16x16x128_f8f6f4 v[108:111], a[184:191], v[152:159], 0// 000000004718: D3AD006C 0A0331B8
	buffer_load_dwordx4 a[112:115], v36, s[92:95], 0 offen offset:2048// 000000004720: E05C1800 80977024
	buffer_load_dwordx4 a[116:119], v36, s[92:95], 0 offen offset:3072// 000000004728: E05C1C00 80977424
	buffer_load_dwordx4 a[120:123], v37, s[92:95], 0 offen offset:2048// 000000004730: E05C1800 80977825
	buffer_load_dwordx4 a[124:127], v37, s[92:95], 0 offen offset:3072// 000000004738: E05C1C00 80977C25
	v_mul_f32_dpp v46, v26, v20 row_newbcast:2 row_mask:0xf bank_mask:0xf// 000000004740: 0A5C28FA FF01521A
	v_mov_b32_e32 v47, v46                                     // 000000004748: 7E5E032E
	v_pk_fma_f32 v[64:65], v[104:105], v[46:47], v[64:65]      // 00000000474C: D3B04040 1D025D68
	v_pk_fma_f32 v[66:67], v[106:107], v[46:47], v[66:67]      // 000000004754: D3B04042 1D0A5D6A
	v_pk_fma_f32 v[68:69], v[108:109], v[46:47], v[68:69]      // 00000000475C: D3B04044 1D125D6C
	v_pk_fma_f32 v[70:71], v[110:111], v[46:47], v[70:71]      // 000000004764: D3B04046 1D1A5D6E
	s_add_u32 s60, 0x300, s80                                  // 00000000476C: 803C50FF 00000300
	s_cmp_lt_u32 s60, s81                                      // 000000004774: BF0A513C
	s_cselect_b32 s57, s57, 0                                  // 000000004778: 85398039
	s_add_u32 s60, 0x300, s80                                  // 00000000477C: 803C50FF 00000300
	s_cmp_lt_u32 s60, s81                                      // 000000004784: BF0A513C
	s_cselect_b32 s58, s58, 0                                  // 000000004788: 853A803A
	s_cselect_b32 s90, s90, 0                                  // 00000000478C: 855A805A
	s_add_u32 s20, s57, s20                                    // 000000004790: 80141439
	s_addc_u32 s21, 0, s21                                     // 000000004794: 82151580
	s_add_u32 s24, s58, s24                                    // 000000004798: 8018183A
	s_addc_u32 s25, 0, s25                                     // 00000000479C: 82191980
	s_add_u32 s92, s90, s92                                    // 0000000047A0: 805C5C5A
	s_addc_u32 s93, 0, s93                                     // 0000000047A4: 825D5D80
	s_addk_i32 s80, 0x100                                      // 0000000047A8: B7500100
	s_cmp_lt_i32 s80, s81                                      // 0000000047AC: BF045150
	s_cbranch_scc0 label_066E                                  // 0000000047B0: BF840001
	s_branch label_0331                                        // 0000000047B4: BF82FCC3

00000000000047b8 <label_066E>:
	s_mov_b32 s20, 0                                           // 0000000047B8: BE940080
	s_cmp_lt_u32 s89, s66                                      // 0000000047BC: BF0A4259
	s_cselect_b32 s60, 0, 1                                    // 0000000047C0: 853C8180
	s_lshl1_add_u32 s20, s20, s60                              // 0000000047C4: 97143C14
	s_cmp_lt_u32 s88, s66                                      // 0000000047C8: BF0A4258
	s_cselect_b32 s60, 0, 1                                    // 0000000047CC: 853C8180
	s_lshl1_add_u32 s20, s20, s60                              // 0000000047D0: 97143C14
	s_cmp_lt_u32 s87, s66                                      // 0000000047D4: BF0A4257
	s_cselect_b32 s60, 0, 1                                    // 0000000047D8: 853C8180
	s_lshl1_add_u32 s20, s20, s60                              // 0000000047DC: 97143C14
	s_cmp_lt_u32 s86, s66                                      // 0000000047E0: BF0A4256
	s_cselect_b32 s60, 0, 1                                    // 0000000047E4: 853C8180
	s_lshl1_add_u32 s20, s20, s60                              // 0000000047E8: 97143C14
	s_cmp_lt_u32 s85, s66                                      // 0000000047EC: BF0A4255
	s_cselect_b32 s60, 0, 1                                    // 0000000047F0: 853C8180
	s_lshl1_add_u32 s20, s20, s60                              // 0000000047F4: 97143C14
	s_cmp_lt_u32 s84, s66                                      // 0000000047F8: BF0A4254
	s_cselect_b32 s60, 0, 1                                    // 0000000047FC: 853C8180
	s_lshl1_add_u32 s20, s20, s60                              // 000000004800: 97143C14
	s_cmp_lt_u32 s83, s66                                      // 000000004804: BF0A4253
	s_cselect_b32 s60, 0, 1                                    // 000000004808: 853C8180
	s_lshl1_add_u32 s20, s20, s60                              // 00000000480C: 97143C14
	s_cmp_lt_u32 s82, s66                                      // 000000004810: BF0A4252
	s_cselect_b32 s60, 0, 1                                    // 000000004814: 853C8180
	s_lshl1_add_u32 s20, s20, s60                              // 000000004818: 97143C14
	s_waitcnt vmcnt(4)                                         // 00000000481C: BF8C0F74
	buffer_load_dword v21, v6, s[16:19], 0 offen               // 000000004820: E0501000 80041506
	s_add_u32 s16, s79, s16                                    // 000000004828: 8010104F
	s_addc_u32 s17, 0, s17                                     // 00000000482C: 82111180
	buffer_load_dwordx4 a[0:3], v38, s[12:15], 0 offen         // 000000004830: E05C1000 80830026
	buffer_load_dwordx4 a[4:7], v38, s[12:15], 0 offen offset:1024// 000000004838: E05C1400 80830426
	buffer_load_dwordx4 a[8:11], v39, s[12:15], 0 offen        // 000000004840: E05C1000 80830827
	buffer_load_dwordx4 a[12:15], v39, s[12:15], 0 offen offset:1024// 000000004848: E05C1400 80830C27
	v_mul_f32_e32 v46, v96, v96                                // 000000004850: 0A5CC160
	v_mul_f32_e32 v47, v97, v97                                // 000000004854: 0A5EC361
	v_mul_f32_e32 v48, v98, v98                                // 000000004858: 0A60C562
	v_mul_f32_e32 v49, v99, v99                                // 00000000485C: 0A62C763
	v_fma_f32 v46, v46, s77, v1                                // 000000004860: D1CB002E 04049B2E
	v_fma_f32 v47, v47, s77, v1                                // 000000004868: D1CB002F 04049B2F
	v_fma_f32 v48, v48, s77, v1                                // 000000004870: D1CB0030 04049B30
	v_fma_f32 v49, v49, s77, v1                                // 000000004878: D1CB0031 04049B31
	v_mul_f32_e32 v46, v46, v96                                // 000000004880: 0A5CC12E
	v_mul_f32_e32 v47, v47, v97                                // 000000004884: 0A5EC32F
	v_mul_f32_e32 v48, v48, v98                                // 000000004888: 0A60C530
	v_mul_f32_e32 v49, v49, v99                                // 00000000488C: 0A62C731
	v_mul_f32_e64 v46, v46, s6                                 // 000000004890: D105002E 00000D2E
	v_mul_f32_e64 v47, v47, s6                                 // 000000004898: D105002F 00000D2F
	v_mul_f32_e64 v48, v48, s6                                 // 0000000048A0: D1050030 00000D30
	v_mul_f32_e64 v49, v49, s6                                 // 0000000048A8: D1050031 00000D31
	v_exp_f32_e32 v46, v46                                     // 0000000048B0: 7E5C412E
	v_exp_f32_e32 v47, v47                                     // 0000000048B4: 7E5E412F
	v_exp_f32_e32 v48, v48                                     // 0000000048B8: 7E604130
	v_exp_f32_e32 v49, v49                                     // 0000000048BC: 7E624131
	buffer_load_dwordx4 a[16:19], v40, s[12:15], 0 offen       // 0000000048C0: E05C1000 80831028
	buffer_load_dwordx4 a[20:23], v40, s[12:15], 0 offen offset:1024// 0000000048C8: E05C1400 80831428
	buffer_load_dwordx4 a[24:27], v41, s[12:15], 0 offen       // 0000000048D0: E05C1000 80831829
	buffer_load_dwordx4 a[28:31], v41, s[12:15], 0 offen offset:1024// 0000000048D8: E05C1400 80831C29
	s_add_u32 s12, s56, s12                                    // 0000000048E0: 800C0C38
	s_addc_u32 s13, 0, s13                                     // 0000000048E4: 820D0D80
	v_add_f32_e64 v46, v46, 1.0                                // 0000000048E8: D101002E 0001E52E
	v_add_f32_e64 v47, v47, 1.0                                // 0000000048F0: D101002F 0001E52F
	v_add_f32_e64 v48, v48, 1.0                                // 0000000048F8: D1010030 0001E530
	v_add_f32_e64 v49, v49, 1.0                                // 000000004900: D1010031 0001E531
	v_rcp_f32_e32 v46, v46                                     // 000000004908: 7E5C452E
	v_rcp_f32_e32 v47, v47                                     // 00000000490C: 7E5E452F
	v_rcp_f32_e32 v48, v48                                     // 000000004910: 7E604530
	v_rcp_f32_e32 v49, v49                                     // 000000004914: 7E624531
	v_mul_f32_e32 v96, v96, v46                                // 000000004918: 0AC05D60
	v_mul_f32_e32 v97, v97, v47                                // 00000000491C: 0AC25F61
	v_mul_f32_e32 v98, v98, v48                                // 000000004920: 0AC46162
	v_mul_f32_e32 v99, v99, v49                                // 000000004924: 0AC66363
	v_mul_f32_e32 v96, v96, v64                                // 000000004928: 0AC08160
	v_mul_f32_e32 v97, v97, v65                                // 00000000492C: 0AC28361
	v_mul_f32_e32 v98, v98, v66                                // 000000004930: 0AC48562
	v_mul_f32_e32 v99, v99, v67                                // 000000004934: 0AC68763
	s_waitcnt vmcnt(4)                                         // 000000004938: BF8C0F74
	buffer_load_dword v22, v6, s[16:19], 0 offen               // 00000000493C: E0501000 80041606
	s_add_u32 s16, s79, s16                                    // 000000004944: 8010104F
	s_addc_u32 s17, 0, s17                                     // 000000004948: 82111180
	buffer_load_dwordx4 a[32:35], v38, s[12:15], 0 offen       // 00000000494C: E05C1000 80832026
	buffer_load_dwordx4 a[36:39], v38, s[12:15], 0 offen offset:1024// 000000004954: E05C1400 80832426
	buffer_load_dwordx4 a[40:43], v39, s[12:15], 0 offen       // 00000000495C: E05C1000 80832827
	buffer_load_dwordx4 a[44:47], v39, s[12:15], 0 offen offset:1024// 000000004964: E05C1400 80832C27
	v_mul_f32_e32 v46, v100, v100                              // 00000000496C: 0A5CC964
	v_mul_f32_e32 v47, v101, v101                              // 000000004970: 0A5ECB65
	v_mul_f32_e32 v48, v102, v102                              // 000000004974: 0A60CD66
	v_mul_f32_e32 v49, v103, v103                              // 000000004978: 0A62CF67
	v_fma_f32 v46, v46, s77, v1                                // 00000000497C: D1CB002E 04049B2E
	v_fma_f32 v47, v47, s77, v1                                // 000000004984: D1CB002F 04049B2F
	v_fma_f32 v48, v48, s77, v1                                // 00000000498C: D1CB0030 04049B30
	v_fma_f32 v49, v49, s77, v1                                // 000000004994: D1CB0031 04049B31
	v_mul_f32_e32 v46, v46, v100                               // 00000000499C: 0A5CC92E
	v_mul_f32_e32 v47, v47, v101                               // 0000000049A0: 0A5ECB2F
	v_mul_f32_e32 v48, v48, v102                               // 0000000049A4: 0A60CD30
	v_mul_f32_e32 v49, v49, v103                               // 0000000049A8: 0A62CF31
	v_mul_f32_e64 v46, v46, s6                                 // 0000000049AC: D105002E 00000D2E
	v_mul_f32_e64 v47, v47, s6                                 // 0000000049B4: D105002F 00000D2F
	v_mul_f32_e64 v48, v48, s6                                 // 0000000049BC: D1050030 00000D30
	v_mul_f32_e64 v49, v49, s6                                 // 0000000049C4: D1050031 00000D31
	v_exp_f32_e32 v46, v46                                     // 0000000049CC: 7E5C412E
	v_exp_f32_e32 v47, v47                                     // 0000000049D0: 7E5E412F
	v_exp_f32_e32 v48, v48                                     // 0000000049D4: 7E604130
	v_exp_f32_e32 v49, v49                                     // 0000000049D8: 7E624131
	buffer_load_dwordx4 a[48:51], v40, s[12:15], 0 offen       // 0000000049DC: E05C1000 80833028
	buffer_load_dwordx4 a[52:55], v40, s[12:15], 0 offen offset:1024// 0000000049E4: E05C1400 80833428
	buffer_load_dwordx4 a[56:59], v41, s[12:15], 0 offen       // 0000000049EC: E05C1000 80833829
	buffer_load_dwordx4 a[60:63], v41, s[12:15], 0 offen offset:1024// 0000000049F4: E05C1400 80833C29
	s_add_u32 s12, s56, s12                                    // 0000000049FC: 800C0C38
	s_addc_u32 s13, 0, s13                                     // 000000004A00: 820D0D80
	v_add_f32_e64 v46, v46, 1.0                                // 000000004A04: D101002E 0001E52E
	v_add_f32_e64 v47, v47, 1.0                                // 000000004A0C: D101002F 0001E52F
	v_add_f32_e64 v48, v48, 1.0                                // 000000004A14: D1010030 0001E530
	v_add_f32_e64 v49, v49, 1.0                                // 000000004A1C: D1010031 0001E531
	v_rcp_f32_e32 v46, v46                                     // 000000004A24: 7E5C452E
	v_rcp_f32_e32 v47, v47                                     // 000000004A28: 7E5E452F
	v_rcp_f32_e32 v48, v48                                     // 000000004A2C: 7E604530
	v_rcp_f32_e32 v49, v49                                     // 000000004A30: 7E624531
	v_mul_f32_e32 v100, v100, v46                              // 000000004A34: 0AC85D64
	v_mul_f32_e32 v101, v101, v47                              // 000000004A38: 0ACA5F65
	v_mul_f32_e32 v102, v102, v48                              // 000000004A3C: 0ACC6166
	v_mul_f32_e32 v103, v103, v49                              // 000000004A40: 0ACE6367
	v_mul_f32_e32 v100, v100, v68                              // 000000004A44: 0AC88964
	v_mul_f32_e32 v101, v101, v69                              // 000000004A48: 0ACA8B65
	v_mul_f32_e32 v102, v102, v70                              // 000000004A4C: 0ACC8D66
	v_mul_f32_e32 v103, v103, v71                              // 000000004A50: 0ACE8F67
	v_lshlrev_b32_e32 v46, 2, v0                               // 000000004A54: 245C0082
	s_mul_i32 s60, s82, s71                                    // 000000004A58: 923C4752
	v_add_u32_e64 v80, v46, s60                                // 000000004A5C: D1340050 0000792E
	v_mov_b32_e32 v81, 0                                       // 000000004A64: 7EA20280
	s_mul_i32 s60, s83, s71                                    // 000000004A68: 923C4753
	v_add_u32_e64 v82, v46, s60                                // 000000004A6C: D1340052 0000792E
	v_mov_b32_e32 v83, 0                                       // 000000004A74: 7EA60280
	s_mul_i32 s60, s84, s71                                    // 000000004A78: 923C4754
	v_add_u32_e64 v84, v46, s60                                // 000000004A7C: D1340054 0000792E
	v_mov_b32_e32 v85, 0                                       // 000000004A84: 7EAA0280
	s_mul_i32 s60, s85, s71                                    // 000000004A88: 923C4755
	v_add_u32_e64 v86, v46, s60                                // 000000004A8C: D1340056 0000792E
	v_mov_b32_e32 v87, 0                                       // 000000004A94: 7EAE0280
	v_mov_b32_e32 v30, 0x358637bd                              // 000000004A98: 7E3C02FF 358637BD
	v_max3_f32 v30, |v96|, |v97|, v30                          // 000000004AA0: D1D3031E 047AC360
	v_max3_f32 v30, |v98|, |v99|, v30                          // 000000004AA8: D1D3031E 047AC762
	v_max3_f32 v30, |v100|, |v101|, v30                        // 000000004AB0: D1D3031E 047ACB64
	v_max3_f32 v30, |v102|, |v103|, v30                        // 000000004AB8: D1D3031E 047ACF66
	v_mov_b32_e32 v46, v30                                     // 000000004AC0: 7E5C031E
	s_nop 1                                                    // 000000004AC4: BF800001
	v_permlane32_swap_b32_e32 v46, v30                         // 000000004AC8: 7E5CB51E
	v_max_f32_e32 v30, v46, v30                                // 000000004ACC: 163C3D2E
	v_mov_b32_e32 v46, v30                                     // 000000004AD0: 7E5C031E
	s_nop 1                                                    // 000000004AD4: BF800001
	v_permlane16_swap_b32_e32 v46, v30                         // 000000004AD8: 7E5CB31E
	v_max_f32_e32 v30, v46, v30                                // 000000004ADC: 163C3D2E
	v_lshlrev_b32_e32 v46, 2, v0                               // 000000004AE0: 245C0082
	s_mul_i32 s60, 64, s7                                      // 000000004AE4: 923C07C0
	v_add_u32_e32 v46, s60, v46                                // 000000004AE8: 685C5C3C
	s_mov_b32 s60, 0xffff                                      // 000000004AEC: BEBC00FF 0000FFFF
	s_mov_b32 s61, 0                                           // 000000004AF4: BEBD0080
	s_mov_b64 exec, s[60:61]                                   // 000000004AF8: BEFE013C
	ds_write_b32 v46, v30 offset:16128                         // 000000004AFC: D81A3F00 00001E2E
	s_mov_b32 s60, -1                                          // 000000004B04: BEBC00C1
	s_mov_b32 s61, -1                                          // 000000004B08: BEBD00C1
	s_mov_b64 exec, s[60:61]                                   // 000000004B0C: BEFE013C
	s_waitcnt lgkmcnt(0)                                       // 000000004B10: BF8CC07F
	s_barrier                                                  // 000000004B14: BF8A0000
	v_lshlrev_b32_e32 v46, 2, v0                               // 000000004B18: 245C0082
	ds_read_b32 v104, v46 offset:16128                         // 000000004B1C: D86C3F00 6800002E
	s_waitcnt lgkmcnt(0)                                       // 000000004B24: BF8CC07F
	v_mov_b32_e32 v46, v104                                    // 000000004B28: 7E5C0368
	s_nop 1                                                    // 000000004B2C: BF800001
	v_permlane32_swap_b32_e32 v46, v104                        // 000000004B30: 7E5CB568
	v_max_f32_e32 v104, v46, v104                              // 000000004B34: 16D0D12E
	v_mov_b32_e32 v46, v104                                    // 000000004B38: 7E5C0368
	s_nop 1                                                    // 000000004B3C: BF800001
	v_permlane16_swap_b32_e32 v46, v104                        // 000000004B40: 7E5CB368
	v_max_f32_e32 v104, v46, v104                              // 000000004B44: 16D0D12E
	v_max_f32_e32 v30, v104, v30                               // 000000004B48: 163C3D68
	v_rcp_f32_e32 v30, v30                                     // 000000004B4C: 7E3C451E
	v_mov_b32_e32 v46, 0x43e00000                              // 000000004B50: 7E5C02FF 43E00000
	v_mul_f32_e32 v30, v46, v30                                // 000000004B58: 0A3C3D2E
	v_mul_f32_e32 v96, v30, v96                                // 000000004B5C: 0AC0C11E
	v_mul_f32_e32 v97, v30, v97                                // 000000004B60: 0AC2C31E
	v_mul_f32_e32 v98, v30, v98                                // 000000004B64: 0AC4C51E
	v_mul_f32_e32 v99, v30, v99                                // 000000004B68: 0AC6C71E
	v_cvt_pk_fp8_f32 v96, v96, v97                             // 000000004B6C: D2A20060 0002C360
	v_cvt_pk_fp8_f32 v96, v98, v99 op_sel:[0,0,1]              // 000000004B74: D2A24060 0002C762
	v_mul_f32_e32 v100, v30, v100                              // 000000004B7C: 0AC8C91E
	v_mul_f32_e32 v101, v30, v101                              // 000000004B80: 0ACACB1E
	v_mul_f32_e32 v102, v30, v102                              // 000000004B84: 0ACCCD1E
	v_mul_f32_e32 v103, v30, v103                              // 000000004B88: 0ACECF1E
	v_cvt_pk_fp8_f32 v97, v100, v101                           // 000000004B8C: D2A20061 0002CB64
	v_cvt_pk_fp8_f32 v97, v102, v103 op_sel:[0,0,1]            // 000000004B94: D2A24061 0002CF66
	v_rcp_f32_e32 v32, v30                                     // 000000004B9C: 7E40451E
	v_nop                                                      // 000000004BA0: 7E000000
	v_lshrrev_b32_e32 v46, 5, v0                               // 000000004BA4: 205C0085
	v_lshlrev_b32_e32 v47, 6, v46                              // 000000004BA8: 245E5C86
	v_and_b32_e32 v46, 31, v0                                  // 000000004BAC: 265C009F
	v_lshrrev_b32_e32 v48, 4, v46                              // 000000004BB0: 20605C84
	v_add_u32_e32 v47, v48, v47                                // 000000004BB4: 685E5F30
	v_and_b32_e32 v46, 15, v0                                  // 000000004BB8: 265C008F
	v_lshlrev_b32_e32 v46, 1, v46                              // 000000004BBC: 245C5C81
	v_add_u32_e32 v47, v46, v47                                // 000000004BC0: 685E5F2E
	v_lshlrev_b32_e32 v46, 2, v47                              // 000000004BC4: 245C5E82
	s_mov_b32 s60, 0                                           // 000000004BC8: BEBC0080
	s_lshr_b32 s61, s7, 1                                      // 000000004BCC: 8F3D8107
	s_mul_i32 s61, s61, 0x200                                  // 000000004BD0: 923DFF3D 00000200
	s_add_u32 s60, s61, s60                                    // 000000004BD8: 803C3C3D
	s_and_b32 s61, s7, 1                                       // 000000004BDC: 863D8107
	s_mul_i32 s61, s61, 0x80                                   // 000000004BE0: 923DFF3D 00000080
	s_add_u32 s60, s61, s60                                    // 000000004BE8: 803C3C3D
	v_add_u32_e64 v46, v46, s60                                // 000000004BEC: D134002E 0000792E
	ds_write_b32 v46, v96 offset:17152                         // 000000004BF4: D81A4300 0000602E
	ds_write_b32 v46, v97 offset:18176                         // 000000004BFC: D81A4700 0000612E
	s_waitcnt lgkmcnt(0)                                       // 000000004C04: BF8CC07F
	s_barrier                                                  // 000000004C08: BF8A0000
	v_and_b32_e32 v46, 31, v0                                  // 000000004C0C: 265C009F
	v_lshrrev_b32_e32 v46, 4, v46                              // 000000004C10: 205C5C84
	v_lshlrev_b32_e32 v47, 5, v46                              // 000000004C14: 245E5C85
	v_lshrrev_b32_e32 v46, 5, v0                               // 000000004C18: 205C0085
	v_lshlrev_b32_e32 v46, 7, v46                              // 000000004C1C: 245C5C87
	v_add_u32_e32 v47, v46, v47                                // 000000004C20: 685E5F2E
	v_and_b32_e32 v46, 15, v0                                  // 000000004C24: 265C008F
	v_lshlrev_b32_e32 v46, 1, v46                              // 000000004C28: 245C5C81
	v_add_u32_e32 v47, v46, v47                                // 000000004C2C: 685E5F2E
	v_lshlrev_b32_e32 v46, 2, v47                              // 000000004C30: 245C5E82
	ds_read_b64 v[96:97], v46 offset:17152                     // 000000004C34: D8EC4300 6000002E
	ds_read_b64 v[98:99], v46 offset:17408                     // 000000004C3C: D8EC4400 6200002E
	ds_read_b64 v[100:101], v46 offset:18176                   // 000000004C44: D8EC4700 6400002E
	ds_read_b64 v[102:103], v46 offset:18432                   // 000000004C4C: D8EC4800 6600002E
	s_waitcnt lgkmcnt(0)                                       // 000000004C54: BF8CC07F
	s_barrier                                                  // 000000004C58: BF8A0000
	v_mov_b32_e32 v112, 0                                      // 000000004C5C: 7EE00280
	v_mov_b32_e32 v128, 0                                      // 000000004C60: 7F000280
	v_mov_b32_e32 v113, 0                                      // 000000004C64: 7EE20280
	v_mov_b32_e32 v129, 0                                      // 000000004C68: 7F020280
	v_mov_b32_e32 v114, 0                                      // 000000004C6C: 7EE40280
	v_mov_b32_e32 v130, 0                                      // 000000004C70: 7F040280
	v_mov_b32_e32 v115, 0                                      // 000000004C74: 7EE60280
	v_mov_b32_e32 v131, 0                                      // 000000004C78: 7F060280
	v_mov_b32_e32 v116, 0                                      // 000000004C7C: 7EE80280
	v_mov_b32_e32 v132, 0                                      // 000000004C80: 7F080280
	v_mov_b32_e32 v117, 0                                      // 000000004C84: 7EEA0280
	v_mov_b32_e32 v133, 0                                      // 000000004C88: 7F0A0280
	v_mov_b32_e32 v118, 0                                      // 000000004C8C: 7EEC0280
	v_mov_b32_e32 v134, 0                                      // 000000004C90: 7F0C0280
	v_mov_b32_e32 v119, 0                                      // 000000004C94: 7EEE0280
	v_mov_b32_e32 v135, 0                                      // 000000004C98: 7F0E0280
	v_mov_b32_e32 v120, 0                                      // 000000004C9C: 7EF00280
	v_mov_b32_e32 v136, 0                                      // 000000004CA0: 7F100280
	v_mov_b32_e32 v121, 0                                      // 000000004CA4: 7EF20280
	v_mov_b32_e32 v137, 0                                      // 000000004CA8: 7F120280
	v_mov_b32_e32 v122, 0                                      // 000000004CAC: 7EF40280
	v_mov_b32_e32 v138, 0                                      // 000000004CB0: 7F140280
	v_mov_b32_e32 v123, 0                                      // 000000004CB4: 7EF60280
	v_mov_b32_e32 v139, 0                                      // 000000004CB8: 7F160280
	v_mov_b32_e32 v124, 0                                      // 000000004CBC: 7EF80280
	v_mov_b32_e32 v140, 0                                      // 000000004CC0: 7F180280
	v_mov_b32_e32 v125, 0                                      // 000000004CC4: 7EFA0280
	v_mov_b32_e32 v141, 0                                      // 000000004CC8: 7F1A0280
	v_mov_b32_e32 v126, 0                                      // 000000004CCC: 7EFC0280
	v_mov_b32_e32 v142, 0                                      // 000000004CD0: 7F1C0280
	v_mov_b32_e32 v127, 0                                      // 000000004CD4: 7EFE0280
	v_mov_b32_e32 v143, 0                                      // 000000004CD8: 7F1E0280
	ds_write_b64 v4, v[112:113] offset:17152                   // 000000004CDC: D89A4300 00007004
	ds_write_b64 v4, v[114:115] offset:19328                   // 000000004CE4: D89A4B80 00007204
	ds_write_b64 v4, v[116:117] offset:21504                   // 000000004CEC: D89A5400 00007404
	ds_write_b64 v4, v[118:119] offset:23680                   // 000000004CF4: D89A5C80 00007604
	s_mov_b32 s80, 0                                           // 000000004CFC: BED00080

0000000000004d00 <label_07C0>:
	s_waitcnt vmcnt(13) lgkmcnt(0)                             // 000000004D00: BF8C007D
	s_barrier                                                  // 000000004D04: BF8A0000
	v_mfma_f32_16x16x128_f8f6f4 v[112:115], a[0:7], v[96:103], 0// 000000004D08: D3AD0070 0A02C100
	ds_read_b32 v64, v5 offset:17152                           // 000000004D10: D86C4300 40000005
	ds_read_b32 v65, v5 offset:21504                           // 000000004D18: D86C5400 41000005
	ds_read_b32 v66, v5 offset:17160                           // 000000004D20: D86C4308 42000005
	ds_read_b32 v67, v5 offset:21512                           // 000000004D28: D86C5408 43000005
	ds_read_b32 v68, v5 offset:17184                           // 000000004D30: D86C4320 44000005
	ds_read_b32 v69, v5 offset:21536                           // 000000004D38: D86C5420 45000005
	ds_read_b32 v70, v5 offset:17192                           // 000000004D40: D86C4328 46000005
	ds_read_b32 v71, v5 offset:21544                           // 000000004D48: D86C5428 47000005
	v_mfma_f32_16x16x128_f8f6f4 v[116:119], a[8:15], v[96:103], 0// 000000004D50: D3AD0074 0A02C108
	buffer_load_dword v23, v6, s[16:19], 0 offen               // 000000004D58: E0501000 80041706
	buffer_load_dwordx4 a[64:67], v38, s[12:15], 0 offen       // 000000004D60: E05C1000 80834026
	buffer_load_dwordx4 a[68:71], v38, s[12:15], 0 offen offset:1024// 000000004D68: E05C1400 80834426
	buffer_load_dwordx4 a[72:75], v39, s[12:15], 0 offen       // 000000004D70: E05C1000 80834827
	buffer_load_dwordx4 a[76:79], v39, s[12:15], 0 offen offset:1024// 000000004D78: E05C1400 80834C27
	s_waitcnt vmcnt(13)                                        // 000000004D80: BF8C0F7D
	v_mfma_f32_16x16x128_f8f6f4 v[120:123], a[16:23], v[96:103], 0// 000000004D84: D3AD0078 0A02C110
	ds_write_b64 v4, v[128:129] offset:34560                   // 000000004D8C: D89A8700 00008004
	ds_write_b64 v4, v[130:131] offset:36736                   // 000000004D94: D89A8F80 00008204
	ds_write_b64 v4, v[132:133] offset:38912                   // 000000004D9C: D89A9800 00008404
	ds_write_b64 v4, v[134:135] offset:41088                   // 000000004DA4: D89AA080 00008604
	v_mfma_f32_16x16x128_f8f6f4 v[124:127], a[24:31], v[96:103], 0// 000000004DAC: D3AD007C 0A02C118
	buffer_load_dwordx4 a[80:83], v40, s[12:15], 0 offen       // 000000004DB4: E05C1000 80835028
	buffer_load_dwordx4 a[84:87], v40, s[12:15], 0 offen offset:1024// 000000004DBC: E05C1400 80835428
	buffer_load_dwordx4 a[88:91], v41, s[12:15], 0 offen       // 000000004DC4: E05C1000 80835829
	buffer_load_dwordx4 a[92:95], v41, s[12:15], 0 offen offset:1024// 000000004DCC: E05C1400 80835C29
	v_mul_f32_dpp v46, v21, v32 row_newbcast:0 row_mask:0xf bank_mask:0xf// 000000004DD4: 0A5C40FA FF015015
	v_mov_b32_e32 v47, v46                                     // 000000004DDC: 7E5E032E
	v_pk_mul_f32 v[112:113], v[46:47], v[112:113]              // 000000004DE0: D3B14070 1802E12E
	v_pk_mul_f32 v[114:115], v[46:47], v[114:115]              // 000000004DE8: D3B14072 1802E52E
	v_pk_mul_f32 v[116:117], v[46:47], v[116:117]              // 000000004DF0: D3B14074 1802E92E
	v_pk_mul_f32 v[118:119], v[46:47], v[118:119]              // 000000004DF8: D3B14076 1802ED2E
	v_mul_f32_dpp v46, v21, v32 row_newbcast:1 row_mask:0xf bank_mask:0xf// 000000004E00: 0A5C40FA FF015115
	v_mov_b32_e32 v47, v46                                     // 000000004E08: 7E5E032E
	v_pk_mul_f32 v[120:121], v[46:47], v[120:121]              // 000000004E0C: D3B14078 1802F12E
	v_pk_mul_f32 v[122:123], v[46:47], v[122:123]              // 000000004E14: D3B1407A 1802F52E
	v_pk_mul_f32 v[124:125], v[46:47], v[124:125]              // 000000004E1C: D3B1407C 1802F92E
	v_pk_mul_f32 v[126:127], v[46:47], v[126:127]              // 000000004E24: D3B1407E 1802FD2E
	s_add_u32 s60, 0x300, s80                                  // 000000004E2C: 803C50FF 00000300
	s_cmp_lt_u32 s60, s81                                      // 000000004E34: BF0A513C
	s_cselect_b32 s56, s56, 0                                  // 000000004E38: 85388038
	s_cselect_b32 s78, s78, 0                                  // 000000004E3C: 854E804E
	s_cselect_b32 s79, s79, 0                                  // 000000004E40: 854F804F
	s_add_u32 s12, s56, s12                                    // 000000004E44: 800C0C38
	s_addc_u32 s13, 0, s13                                     // 000000004E48: 820D0D80
	s_add_u32 s16, s79, s16                                    // 000000004E4C: 8010104F
	s_addc_u32 s17, 0, s17                                     // 000000004E50: 82111180
	v_mov_b32_e32 v46, v27                                     // 000000004E54: 7E5C031B
	v_mov_b32_e32 v47, v27                                     // 000000004E58: 7E5E031B
	v_pk_mul_f32 v[112:113], v[46:47], v[112:113]              // 000000004E5C: D3B14070 1802E12E
	v_pk_mul_f32 v[114:115], v[46:47], v[114:115]              // 000000004E64: D3B14072 1802E52E
	v_pk_mul_f32 v[116:117], v[46:47], v[116:117]              // 000000004E6C: D3B14074 1802E92E
	v_pk_mul_f32 v[118:119], v[46:47], v[118:119]              // 000000004E74: D3B14076 1802ED2E
	v_pk_mul_f32 v[120:121], v[46:47], v[120:121]              // 000000004E7C: D3B14078 1802F12E
	v_pk_mul_f32 v[122:123], v[46:47], v[122:123]              // 000000004E84: D3B1407A 1802F52E
	v_pk_mul_f32 v[124:125], v[46:47], v[124:125]              // 000000004E8C: D3B1407C 1802F92E
	v_pk_mul_f32 v[126:127], v[46:47], v[126:127]              // 000000004E94: D3B1407E 1802FD2E
	v_cvt_pk_bf16_f32 v112, v112, v113                         // 000000004E9C: D2680070 0002E370
	v_cvt_pk_bf16_f32 v113, v114, v115                         // 000000004EA4: D2680071 0002E772
	v_cvt_pk_bf16_f32 v114, v116, v117                         // 000000004EAC: D2680072 0002EB74
	v_cvt_pk_bf16_f32 v115, v118, v119                         // 000000004EB4: D2680073 0002EF76
	v_cvt_pk_bf16_f32 v116, v120, v121                         // 000000004EBC: D2680074 0002F378
	v_cvt_pk_bf16_f32 v117, v122, v123                         // 000000004EC4: D2680075 0002F77A
	v_cvt_pk_bf16_f32 v118, v124, v125                         // 000000004ECC: D2680076 0002FB7C
	v_cvt_pk_bf16_f32 v119, v126, v127                         // 000000004ED4: D2680077 0002FF7E
	s_cmp_ge_u32 s80, 0x200                                    // 000000004EDC: BF09FF50 00000200
	s_cselect_b32 s59, 0x200, s59                              // 000000004EE4: 853B3BFF 00000200
	s_waitcnt lgkmcnt(0)                                       // 000000004EEC: BF8CC07F
	s_barrier                                                  // 000000004EF0: BF8A0000
	s_setvskip s20, 0                                          // 000000004EF4: BF108014
	global_atomic_pk_add_bf16 v80, v64, s[8:9]                 // 000000004EF8: DD488000 00084050
	s_setvskip 0, 0                                            // 000000004F00: BF108080
	s_setvskip s20, 0                                          // 000000004F04: BF108014
	global_atomic_pk_add_bf16 v80, v65, s[8:9] offset:256      // 000000004F08: DD488100 00084150
	s_setvskip 0, 0                                            // 000000004F10: BF108080
	s_setvskip s20, 1                                          // 000000004F14: BF108114
	global_atomic_pk_add_bf16 v82, v66, s[8:9]                 // 000000004F18: DD488000 00084252
	s_setvskip 0, 0                                            // 000000004F20: BF108080
	s_setvskip s20, 1                                          // 000000004F24: BF108114
	global_atomic_pk_add_bf16 v82, v67, s[8:9] offset:256      // 000000004F28: DD488100 00084352
	s_setvskip 0, 0                                            // 000000004F30: BF108080
	s_setvskip s20, 2                                          // 000000004F34: BF108214
	global_atomic_pk_add_bf16 v84, v68, s[8:9]                 // 000000004F38: DD488000 00084454
	s_setvskip 0, 0                                            // 000000004F40: BF108080
	s_setvskip s20, 2                                          // 000000004F44: BF108214
	global_atomic_pk_add_bf16 v84, v69, s[8:9] offset:256      // 000000004F48: DD488100 00084554
	s_setvskip 0, 0                                            // 000000004F50: BF108080
	s_setvskip s20, 3                                          // 000000004F54: BF108314
	global_atomic_pk_add_bf16 v86, v70, s[8:9]                 // 000000004F58: DD488000 00084656
	s_setvskip 0, 0                                            // 000000004F60: BF108080
	s_setvskip s20, 3                                          // 000000004F64: BF108314
	global_atomic_pk_add_bf16 v86, v71, s[8:9] offset:256      // 000000004F68: DD488100 00084756
	s_setvskip 0, 0                                            // 000000004F70: BF108080
	s_add_u32 s8, s59, s8                                      // 000000004F74: 8008083B
	s_addc_u32 s9, 0, s9                                       // 000000004F78: 82090980
	s_addk_i32 s80, 0x100                                      // 000000004F7C: B7500100
	s_cmp_lt_i32 s80, s81                                      // 000000004F80: BF045150
	s_cbranch_scc0 label_0B8D                                  // 000000004F84: BF84032B
	s_waitcnt vmcnt(13) lgkmcnt(0)                             // 000000004F88: BF8C007D
	s_barrier                                                  // 000000004F8C: BF8A0000
	v_mfma_f32_16x16x128_f8f6f4 v[128:131], a[32:39], v[96:103], 0// 000000004F90: D3AD0080 0A02C120
	ds_read_b32 v64, v5 offset:34560                           // 000000004F98: D86C8700 40000005
	ds_read_b32 v65, v5 offset:38912                           // 000000004FA0: D86C9800 41000005
	ds_read_b32 v66, v5 offset:34568                           // 000000004FA8: D86C8708 42000005
	ds_read_b32 v67, v5 offset:38920                           // 000000004FB0: D86C9808 43000005
	ds_read_b32 v68, v5 offset:34592                           // 000000004FB8: D86C8720 44000005
	ds_read_b32 v69, v5 offset:38944                           // 000000004FC0: D86C9820 45000005
	ds_read_b32 v70, v5 offset:34600                           // 000000004FC8: D86C8728 46000005
	ds_read_b32 v71, v5 offset:38952                           // 000000004FD0: D86C9828 47000005
	v_mfma_f32_16x16x128_f8f6f4 v[132:135], a[40:47], v[96:103], 0// 000000004FD8: D3AD0084 0A02C128
	buffer_load_dword v21, v6, s[16:19], 0 offen               // 000000004FE0: E0501000 80041506
	buffer_load_dwordx4 a[0:3], v38, s[12:15], 0 offen         // 000000004FE8: E05C1000 80830026
	buffer_load_dwordx4 a[4:7], v38, s[12:15], 0 offen offset:1024// 000000004FF0: E05C1400 80830426
	buffer_load_dwordx4 a[8:11], v39, s[12:15], 0 offen        // 000000004FF8: E05C1000 80830827
	buffer_load_dwordx4 a[12:15], v39, s[12:15], 0 offen offset:1024// 000000005000: E05C1400 80830C27
	s_waitcnt vmcnt(13)                                        // 000000005008: BF8C0F7D
	v_mfma_f32_16x16x128_f8f6f4 v[136:139], a[48:55], v[96:103], 0// 00000000500C: D3AD0088 0A02C130
	ds_write_b64 v4, v[112:113] offset:17152                   // 000000005014: D89A4300 00007004
	ds_write_b64 v4, v[114:115] offset:19328                   // 00000000501C: D89A4B80 00007204
	ds_write_b64 v4, v[116:117] offset:21504                   // 000000005024: D89A5400 00007404
	ds_write_b64 v4, v[118:119] offset:23680                   // 00000000502C: D89A5C80 00007604
	v_mfma_f32_16x16x128_f8f6f4 v[140:143], a[56:63], v[96:103], 0// 000000005034: D3AD008C 0A02C138
	buffer_load_dwordx4 a[16:19], v40, s[12:15], 0 offen       // 00000000503C: E05C1000 80831028
	buffer_load_dwordx4 a[20:23], v40, s[12:15], 0 offen offset:1024// 000000005044: E05C1400 80831428
	buffer_load_dwordx4 a[24:27], v41, s[12:15], 0 offen       // 00000000504C: E05C1000 80831829
	buffer_load_dwordx4 a[28:31], v41, s[12:15], 0 offen offset:1024// 000000005054: E05C1400 80831C29
	v_mul_f32_dpp v46, v22, v32 row_newbcast:0 row_mask:0xf bank_mask:0xf// 00000000505C: 0A5C40FA FF015016
	v_mov_b32_e32 v47, v46                                     // 000000005064: 7E5E032E
	v_pk_mul_f32 v[128:129], v[46:47], v[128:129]              // 000000005068: D3B14080 1803012E
	v_pk_mul_f32 v[130:131], v[46:47], v[130:131]              // 000000005070: D3B14082 1803052E
	v_pk_mul_f32 v[132:133], v[46:47], v[132:133]              // 000000005078: D3B14084 1803092E
	v_pk_mul_f32 v[134:135], v[46:47], v[134:135]              // 000000005080: D3B14086 18030D2E
	v_mul_f32_dpp v46, v22, v32 row_newbcast:1 row_mask:0xf bank_mask:0xf// 000000005088: 0A5C40FA FF015116
	v_mov_b32_e32 v47, v46                                     // 000000005090: 7E5E032E
	v_pk_mul_f32 v[136:137], v[46:47], v[136:137]              // 000000005094: D3B14088 1803112E
	v_pk_mul_f32 v[138:139], v[46:47], v[138:139]              // 00000000509C: D3B1408A 1803152E
	v_pk_mul_f32 v[140:141], v[46:47], v[140:141]              // 0000000050A4: D3B1408C 1803192E
	v_pk_mul_f32 v[142:143], v[46:47], v[142:143]              // 0000000050AC: D3B1408E 18031D2E
	s_add_u32 s60, 0x300, s80                                  // 0000000050B4: 803C50FF 00000300
	s_cmp_lt_u32 s60, s81                                      // 0000000050BC: BF0A513C
	s_cselect_b32 s56, s56, 0                                  // 0000000050C0: 85388038
	s_cselect_b32 s78, s78, 0                                  // 0000000050C4: 854E804E
	s_cselect_b32 s79, s79, 0                                  // 0000000050C8: 854F804F
	s_add_u32 s12, s56, s12                                    // 0000000050CC: 800C0C38
	s_addc_u32 s13, 0, s13                                     // 0000000050D0: 820D0D80
	s_add_u32 s16, s79, s16                                    // 0000000050D4: 8010104F
	s_addc_u32 s17, 0, s17                                     // 0000000050D8: 82111180
	v_mov_b32_e32 v46, v27                                     // 0000000050DC: 7E5C031B
	v_mov_b32_e32 v47, v27                                     // 0000000050E0: 7E5E031B
	v_pk_mul_f32 v[128:129], v[46:47], v[128:129]              // 0000000050E4: D3B14080 1803012E
	v_pk_mul_f32 v[130:131], v[46:47], v[130:131]              // 0000000050EC: D3B14082 1803052E
	v_pk_mul_f32 v[132:133], v[46:47], v[132:133]              // 0000000050F4: D3B14084 1803092E
	v_pk_mul_f32 v[134:135], v[46:47], v[134:135]              // 0000000050FC: D3B14086 18030D2E
	v_pk_mul_f32 v[136:137], v[46:47], v[136:137]              // 000000005104: D3B14088 1803112E
	v_pk_mul_f32 v[138:139], v[46:47], v[138:139]              // 00000000510C: D3B1408A 1803152E
	v_pk_mul_f32 v[140:141], v[46:47], v[140:141]              // 000000005114: D3B1408C 1803192E
	v_pk_mul_f32 v[142:143], v[46:47], v[142:143]              // 00000000511C: D3B1408E 18031D2E
	v_cvt_pk_bf16_f32 v128, v128, v129                         // 000000005124: D2680080 00030380
	v_cvt_pk_bf16_f32 v129, v130, v131                         // 00000000512C: D2680081 00030782
	v_cvt_pk_bf16_f32 v130, v132, v133                         // 000000005134: D2680082 00030B84
	v_cvt_pk_bf16_f32 v131, v134, v135                         // 00000000513C: D2680083 00030F86
	v_cvt_pk_bf16_f32 v132, v136, v137                         // 000000005144: D2680084 00031388
	v_cvt_pk_bf16_f32 v133, v138, v139                         // 00000000514C: D2680085 0003178A
	v_cvt_pk_bf16_f32 v134, v140, v141                         // 000000005154: D2680086 00031B8C
	v_cvt_pk_bf16_f32 v135, v142, v143                         // 00000000515C: D2680087 00031F8E
	s_cmp_ge_u32 s80, 0x200                                    // 000000005164: BF09FF50 00000200
	s_cselect_b32 s59, 0x200, s59                              // 00000000516C: 853B3BFF 00000200
	s_waitcnt lgkmcnt(0)                                       // 000000005174: BF8CC07F
	s_barrier                                                  // 000000005178: BF8A0000
	s_setvskip s20, 0                                          // 00000000517C: BF108014
	global_atomic_pk_add_bf16 v80, v64, s[8:9]                 // 000000005180: DD488000 00084050
	s_setvskip 0, 0                                            // 000000005188: BF108080
	s_setvskip s20, 0                                          // 00000000518C: BF108014
	global_atomic_pk_add_bf16 v80, v65, s[8:9] offset:256      // 000000005190: DD488100 00084150
	s_setvskip 0, 0                                            // 000000005198: BF108080
	s_setvskip s20, 1                                          // 00000000519C: BF108114
	global_atomic_pk_add_bf16 v82, v66, s[8:9]                 // 0000000051A0: DD488000 00084252
	s_setvskip 0, 0                                            // 0000000051A8: BF108080
	s_setvskip s20, 1                                          // 0000000051AC: BF108114
	global_atomic_pk_add_bf16 v82, v67, s[8:9] offset:256      // 0000000051B0: DD488100 00084352
	s_setvskip 0, 0                                            // 0000000051B8: BF108080
	s_setvskip s20, 2                                          // 0000000051BC: BF108214
	global_atomic_pk_add_bf16 v84, v68, s[8:9]                 // 0000000051C0: DD488000 00084454
	s_setvskip 0, 0                                            // 0000000051C8: BF108080
	s_setvskip s20, 2                                          // 0000000051CC: BF108214
	global_atomic_pk_add_bf16 v84, v69, s[8:9] offset:256      // 0000000051D0: DD488100 00084554
	s_setvskip 0, 0                                            // 0000000051D8: BF108080
	s_setvskip s20, 3                                          // 0000000051DC: BF108314
	global_atomic_pk_add_bf16 v86, v70, s[8:9]                 // 0000000051E0: DD488000 00084656
	s_setvskip 0, 0                                            // 0000000051E8: BF108080
	s_setvskip s20, 3                                          // 0000000051EC: BF108314
	global_atomic_pk_add_bf16 v86, v71, s[8:9] offset:256      // 0000000051F0: DD488100 00084756
	s_setvskip 0, 0                                            // 0000000051F8: BF108080
	s_add_u32 s8, s59, s8                                      // 0000000051FC: 8008083B
	s_addc_u32 s9, 0, s9                                       // 000000005200: 82090980
	s_addk_i32 s80, 0x100                                      // 000000005204: B7500100
	s_cmp_lt_i32 s80, s81                                      // 000000005208: BF045150
	s_cbranch_scc0 label_0B8D                                  // 00000000520C: BF840289
	s_waitcnt vmcnt(13) lgkmcnt(0)                             // 000000005210: BF8C007D
	s_barrier                                                  // 000000005214: BF8A0000
	v_mfma_f32_16x16x128_f8f6f4 v[112:115], a[64:71], v[96:103], 0// 000000005218: D3AD0070 0A02C140
	ds_read_b32 v64, v5 offset:17152                           // 000000005220: D86C4300 40000005
	ds_read_b32 v65, v5 offset:21504                           // 000000005228: D86C5400 41000005
	ds_read_b32 v66, v5 offset:17160                           // 000000005230: D86C4308 42000005
	ds_read_b32 v67, v5 offset:21512                           // 000000005238: D86C5408 43000005
	ds_read_b32 v68, v5 offset:17184                           // 000000005240: D86C4320 44000005
	ds_read_b32 v69, v5 offset:21536                           // 000000005248: D86C5420 45000005
	ds_read_b32 v70, v5 offset:17192                           // 000000005250: D86C4328 46000005
	ds_read_b32 v71, v5 offset:21544                           // 000000005258: D86C5428 47000005
	v_mfma_f32_16x16x128_f8f6f4 v[116:119], a[72:79], v[96:103], 0// 000000005260: D3AD0074 0A02C148
	buffer_load_dword v22, v6, s[16:19], 0 offen               // 000000005268: E0501000 80041606
	buffer_load_dwordx4 a[32:35], v38, s[12:15], 0 offen       // 000000005270: E05C1000 80832026
	buffer_load_dwordx4 a[36:39], v38, s[12:15], 0 offen offset:1024// 000000005278: E05C1400 80832426
	buffer_load_dwordx4 a[40:43], v39, s[12:15], 0 offen       // 000000005280: E05C1000 80832827
	buffer_load_dwordx4 a[44:47], v39, s[12:15], 0 offen offset:1024// 000000005288: E05C1400 80832C27
	s_waitcnt vmcnt(13)                                        // 000000005290: BF8C0F7D
	v_mfma_f32_16x16x128_f8f6f4 v[120:123], a[80:87], v[96:103], 0// 000000005294: D3AD0078 0A02C150
	ds_write_b64 v4, v[128:129] offset:34560                   // 00000000529C: D89A8700 00008004
	ds_write_b64 v4, v[130:131] offset:36736                   // 0000000052A4: D89A8F80 00008204
	ds_write_b64 v4, v[132:133] offset:38912                   // 0000000052AC: D89A9800 00008404
	ds_write_b64 v4, v[134:135] offset:41088                   // 0000000052B4: D89AA080 00008604
	v_mfma_f32_16x16x128_f8f6f4 v[124:127], a[88:95], v[96:103], 0// 0000000052BC: D3AD007C 0A02C158
	buffer_load_dwordx4 a[48:51], v40, s[12:15], 0 offen       // 0000000052C4: E05C1000 80833028
	buffer_load_dwordx4 a[52:55], v40, s[12:15], 0 offen offset:1024// 0000000052CC: E05C1400 80833428
	buffer_load_dwordx4 a[56:59], v41, s[12:15], 0 offen       // 0000000052D4: E05C1000 80833829
	buffer_load_dwordx4 a[60:63], v41, s[12:15], 0 offen offset:1024// 0000000052DC: E05C1400 80833C29
	v_mul_f32_dpp v46, v23, v32 row_newbcast:0 row_mask:0xf bank_mask:0xf// 0000000052E4: 0A5C40FA FF015017
	v_mov_b32_e32 v47, v46                                     // 0000000052EC: 7E5E032E
	v_pk_mul_f32 v[112:113], v[46:47], v[112:113]              // 0000000052F0: D3B14070 1802E12E
	v_pk_mul_f32 v[114:115], v[46:47], v[114:115]              // 0000000052F8: D3B14072 1802E52E
	v_pk_mul_f32 v[116:117], v[46:47], v[116:117]              // 000000005300: D3B14074 1802E92E
	v_pk_mul_f32 v[118:119], v[46:47], v[118:119]              // 000000005308: D3B14076 1802ED2E
	v_mul_f32_dpp v46, v23, v32 row_newbcast:1 row_mask:0xf bank_mask:0xf// 000000005310: 0A5C40FA FF015117
	v_mov_b32_e32 v47, v46                                     // 000000005318: 7E5E032E
	v_pk_mul_f32 v[120:121], v[46:47], v[120:121]              // 00000000531C: D3B14078 1802F12E
	v_pk_mul_f32 v[122:123], v[46:47], v[122:123]              // 000000005324: D3B1407A 1802F52E
	v_pk_mul_f32 v[124:125], v[46:47], v[124:125]              // 00000000532C: D3B1407C 1802F92E
	v_pk_mul_f32 v[126:127], v[46:47], v[126:127]              // 000000005334: D3B1407E 1802FD2E
	s_add_u32 s60, 0x300, s80                                  // 00000000533C: 803C50FF 00000300
	s_cmp_lt_u32 s60, s81                                      // 000000005344: BF0A513C
	s_cselect_b32 s56, s56, 0                                  // 000000005348: 85388038
	s_cselect_b32 s78, s78, 0                                  // 00000000534C: 854E804E
	s_cselect_b32 s79, s79, 0                                  // 000000005350: 854F804F
	s_add_u32 s12, s56, s12                                    // 000000005354: 800C0C38
	s_addc_u32 s13, 0, s13                                     // 000000005358: 820D0D80
	s_add_u32 s16, s79, s16                                    // 00000000535C: 8010104F
	s_addc_u32 s17, 0, s17                                     // 000000005360: 82111180
	v_mov_b32_e32 v46, v27                                     // 000000005364: 7E5C031B
	v_mov_b32_e32 v47, v27                                     // 000000005368: 7E5E031B
	v_pk_mul_f32 v[112:113], v[46:47], v[112:113]              // 00000000536C: D3B14070 1802E12E
	v_pk_mul_f32 v[114:115], v[46:47], v[114:115]              // 000000005374: D3B14072 1802E52E
	v_pk_mul_f32 v[116:117], v[46:47], v[116:117]              // 00000000537C: D3B14074 1802E92E
	v_pk_mul_f32 v[118:119], v[46:47], v[118:119]              // 000000005384: D3B14076 1802ED2E
	v_pk_mul_f32 v[120:121], v[46:47], v[120:121]              // 00000000538C: D3B14078 1802F12E
	v_pk_mul_f32 v[122:123], v[46:47], v[122:123]              // 000000005394: D3B1407A 1802F52E
	v_pk_mul_f32 v[124:125], v[46:47], v[124:125]              // 00000000539C: D3B1407C 1802F92E
	v_pk_mul_f32 v[126:127], v[46:47], v[126:127]              // 0000000053A4: D3B1407E 1802FD2E
	v_cvt_pk_bf16_f32 v112, v112, v113                         // 0000000053AC: D2680070 0002E370
	v_cvt_pk_bf16_f32 v113, v114, v115                         // 0000000053B4: D2680071 0002E772
	v_cvt_pk_bf16_f32 v114, v116, v117                         // 0000000053BC: D2680072 0002EB74
	v_cvt_pk_bf16_f32 v115, v118, v119                         // 0000000053C4: D2680073 0002EF76
	v_cvt_pk_bf16_f32 v116, v120, v121                         // 0000000053CC: D2680074 0002F378
	v_cvt_pk_bf16_f32 v117, v122, v123                         // 0000000053D4: D2680075 0002F77A
	v_cvt_pk_bf16_f32 v118, v124, v125                         // 0000000053DC: D2680076 0002FB7C
	v_cvt_pk_bf16_f32 v119, v126, v127                         // 0000000053E4: D2680077 0002FF7E
	s_cmp_ge_u32 s80, 0x200                                    // 0000000053EC: BF09FF50 00000200
	s_cselect_b32 s59, 0x200, s59                              // 0000000053F4: 853B3BFF 00000200
	s_waitcnt lgkmcnt(0)                                       // 0000000053FC: BF8CC07F
	s_barrier                                                  // 000000005400: BF8A0000
	s_setvskip s20, 0                                          // 000000005404: BF108014
	global_atomic_pk_add_bf16 v80, v64, s[8:9]                 // 000000005408: DD488000 00084050
	s_setvskip 0, 0                                            // 000000005410: BF108080
	s_setvskip s20, 0                                          // 000000005414: BF108014
	global_atomic_pk_add_bf16 v80, v65, s[8:9] offset:256      // 000000005418: DD488100 00084150
	s_setvskip 0, 0                                            // 000000005420: BF108080
	s_setvskip s20, 1                                          // 000000005424: BF108114
	global_atomic_pk_add_bf16 v82, v66, s[8:9]                 // 000000005428: DD488000 00084252
	s_setvskip 0, 0                                            // 000000005430: BF108080
	s_setvskip s20, 1                                          // 000000005434: BF108114
	global_atomic_pk_add_bf16 v82, v67, s[8:9] offset:256      // 000000005438: DD488100 00084352
	s_setvskip 0, 0                                            // 000000005440: BF108080
	s_setvskip s20, 2                                          // 000000005444: BF108214
	global_atomic_pk_add_bf16 v84, v68, s[8:9]                 // 000000005448: DD488000 00084454
	s_setvskip 0, 0                                            // 000000005450: BF108080
	s_setvskip s20, 2                                          // 000000005454: BF108214
	global_atomic_pk_add_bf16 v84, v69, s[8:9] offset:256      // 000000005458: DD488100 00084554
	s_setvskip 0, 0                                            // 000000005460: BF108080
	s_setvskip s20, 3                                          // 000000005464: BF108314
	global_atomic_pk_add_bf16 v86, v70, s[8:9]                 // 000000005468: DD488000 00084656
	s_setvskip 0, 0                                            // 000000005470: BF108080
	s_setvskip s20, 3                                          // 000000005474: BF108314
	global_atomic_pk_add_bf16 v86, v71, s[8:9] offset:256      // 000000005478: DD488100 00084756
	s_setvskip 0, 0                                            // 000000005480: BF108080
	s_add_u32 s8, s59, s8                                      // 000000005484: 8008083B
	s_addc_u32 s9, 0, s9                                       // 000000005488: 82090980
	s_addk_i32 s80, 0x100                                      // 00000000548C: B7500100
	s_cmp_lt_i32 s80, s81                                      // 000000005490: BF045150
	s_cbranch_scc0 label_0B8D                                  // 000000005494: BF8401E7
	s_waitcnt vmcnt(13) lgkmcnt(0)                             // 000000005498: BF8C007D
	s_barrier                                                  // 00000000549C: BF8A0000
	v_mfma_f32_16x16x128_f8f6f4 v[128:131], a[0:7], v[96:103], 0// 0000000054A0: D3AD0080 0A02C100
	ds_read_b32 v64, v5 offset:34560                           // 0000000054A8: D86C8700 40000005
	ds_read_b32 v65, v5 offset:38912                           // 0000000054B0: D86C9800 41000005
	ds_read_b32 v66, v5 offset:34568                           // 0000000054B8: D86C8708 42000005
	ds_read_b32 v67, v5 offset:38920                           // 0000000054C0: D86C9808 43000005
	ds_read_b32 v68, v5 offset:34592                           // 0000000054C8: D86C8720 44000005
	ds_read_b32 v69, v5 offset:38944                           // 0000000054D0: D86C9820 45000005
	ds_read_b32 v70, v5 offset:34600                           // 0000000054D8: D86C8728 46000005
	ds_read_b32 v71, v5 offset:38952                           // 0000000054E0: D86C9828 47000005
	v_mfma_f32_16x16x128_f8f6f4 v[132:135], a[8:15], v[96:103], 0// 0000000054E8: D3AD0084 0A02C108
	buffer_load_dword v23, v6, s[16:19], 0 offen               // 0000000054F0: E0501000 80041706
	buffer_load_dwordx4 a[64:67], v38, s[12:15], 0 offen       // 0000000054F8: E05C1000 80834026
	buffer_load_dwordx4 a[68:71], v38, s[12:15], 0 offen offset:1024// 000000005500: E05C1400 80834426
	buffer_load_dwordx4 a[72:75], v39, s[12:15], 0 offen       // 000000005508: E05C1000 80834827
	buffer_load_dwordx4 a[76:79], v39, s[12:15], 0 offen offset:1024// 000000005510: E05C1400 80834C27
	s_waitcnt vmcnt(13)                                        // 000000005518: BF8C0F7D
	v_mfma_f32_16x16x128_f8f6f4 v[136:139], a[16:23], v[96:103], 0// 00000000551C: D3AD0088 0A02C110
	ds_write_b64 v4, v[112:113] offset:17152                   // 000000005524: D89A4300 00007004
	ds_write_b64 v4, v[114:115] offset:19328                   // 00000000552C: D89A4B80 00007204
	ds_write_b64 v4, v[116:117] offset:21504                   // 000000005534: D89A5400 00007404
	ds_write_b64 v4, v[118:119] offset:23680                   // 00000000553C: D89A5C80 00007604
	v_mfma_f32_16x16x128_f8f6f4 v[140:143], a[24:31], v[96:103], 0// 000000005544: D3AD008C 0A02C118
	buffer_load_dwordx4 a[80:83], v40, s[12:15], 0 offen       // 00000000554C: E05C1000 80835028
	buffer_load_dwordx4 a[84:87], v40, s[12:15], 0 offen offset:1024// 000000005554: E05C1400 80835428
	buffer_load_dwordx4 a[88:91], v41, s[12:15], 0 offen       // 00000000555C: E05C1000 80835829
	buffer_load_dwordx4 a[92:95], v41, s[12:15], 0 offen offset:1024// 000000005564: E05C1400 80835C29
	v_mul_f32_dpp v46, v21, v32 row_newbcast:0 row_mask:0xf bank_mask:0xf// 00000000556C: 0A5C40FA FF015015
	v_mov_b32_e32 v47, v46                                     // 000000005574: 7E5E032E
	v_pk_mul_f32 v[128:129], v[46:47], v[128:129]              // 000000005578: D3B14080 1803012E
	v_pk_mul_f32 v[130:131], v[46:47], v[130:131]              // 000000005580: D3B14082 1803052E
	v_pk_mul_f32 v[132:133], v[46:47], v[132:133]              // 000000005588: D3B14084 1803092E
	v_pk_mul_f32 v[134:135], v[46:47], v[134:135]              // 000000005590: D3B14086 18030D2E
	v_mul_f32_dpp v46, v21, v32 row_newbcast:1 row_mask:0xf bank_mask:0xf// 000000005598: 0A5C40FA FF015115
	v_mov_b32_e32 v47, v46                                     // 0000000055A0: 7E5E032E
	v_pk_mul_f32 v[136:137], v[46:47], v[136:137]              // 0000000055A4: D3B14088 1803112E
	v_pk_mul_f32 v[138:139], v[46:47], v[138:139]              // 0000000055AC: D3B1408A 1803152E
	v_pk_mul_f32 v[140:141], v[46:47], v[140:141]              // 0000000055B4: D3B1408C 1803192E
	v_pk_mul_f32 v[142:143], v[46:47], v[142:143]              // 0000000055BC: D3B1408E 18031D2E
	s_add_u32 s60, 0x300, s80                                  // 0000000055C4: 803C50FF 00000300
	s_cmp_lt_u32 s60, s81                                      // 0000000055CC: BF0A513C
	s_cselect_b32 s56, s56, 0                                  // 0000000055D0: 85388038
	s_cselect_b32 s78, s78, 0                                  // 0000000055D4: 854E804E
	s_cselect_b32 s79, s79, 0                                  // 0000000055D8: 854F804F
	s_add_u32 s12, s56, s12                                    // 0000000055DC: 800C0C38
	s_addc_u32 s13, 0, s13                                     // 0000000055E0: 820D0D80
	s_add_u32 s16, s79, s16                                    // 0000000055E4: 8010104F
	s_addc_u32 s17, 0, s17                                     // 0000000055E8: 82111180
	v_mov_b32_e32 v46, v27                                     // 0000000055EC: 7E5C031B
	v_mov_b32_e32 v47, v27                                     // 0000000055F0: 7E5E031B
	v_pk_mul_f32 v[128:129], v[46:47], v[128:129]              // 0000000055F4: D3B14080 1803012E
	v_pk_mul_f32 v[130:131], v[46:47], v[130:131]              // 0000000055FC: D3B14082 1803052E
	v_pk_mul_f32 v[132:133], v[46:47], v[132:133]              // 000000005604: D3B14084 1803092E
	v_pk_mul_f32 v[134:135], v[46:47], v[134:135]              // 00000000560C: D3B14086 18030D2E
	v_pk_mul_f32 v[136:137], v[46:47], v[136:137]              // 000000005614: D3B14088 1803112E
	v_pk_mul_f32 v[138:139], v[46:47], v[138:139]              // 00000000561C: D3B1408A 1803152E
	v_pk_mul_f32 v[140:141], v[46:47], v[140:141]              // 000000005624: D3B1408C 1803192E
	v_pk_mul_f32 v[142:143], v[46:47], v[142:143]              // 00000000562C: D3B1408E 18031D2E
	v_cvt_pk_bf16_f32 v128, v128, v129                         // 000000005634: D2680080 00030380
	v_cvt_pk_bf16_f32 v129, v130, v131                         // 00000000563C: D2680081 00030782
	v_cvt_pk_bf16_f32 v130, v132, v133                         // 000000005644: D2680082 00030B84
	v_cvt_pk_bf16_f32 v131, v134, v135                         // 00000000564C: D2680083 00030F86
	v_cvt_pk_bf16_f32 v132, v136, v137                         // 000000005654: D2680084 00031388
	v_cvt_pk_bf16_f32 v133, v138, v139                         // 00000000565C: D2680085 0003178A
	v_cvt_pk_bf16_f32 v134, v140, v141                         // 000000005664: D2680086 00031B8C
	v_cvt_pk_bf16_f32 v135, v142, v143                         // 00000000566C: D2680087 00031F8E
	s_cmp_ge_u32 s80, 0x200                                    // 000000005674: BF09FF50 00000200
	s_cselect_b32 s59, 0x200, s59                              // 00000000567C: 853B3BFF 00000200
	s_waitcnt lgkmcnt(0)                                       // 000000005684: BF8CC07F
	s_barrier                                                  // 000000005688: BF8A0000
	s_setvskip s20, 0                                          // 00000000568C: BF108014
	global_atomic_pk_add_bf16 v80, v64, s[8:9]                 // 000000005690: DD488000 00084050
	s_setvskip 0, 0                                            // 000000005698: BF108080
	s_setvskip s20, 0                                          // 00000000569C: BF108014
	global_atomic_pk_add_bf16 v80, v65, s[8:9] offset:256      // 0000000056A0: DD488100 00084150
	s_setvskip 0, 0                                            // 0000000056A8: BF108080
	s_setvskip s20, 1                                          // 0000000056AC: BF108114
	global_atomic_pk_add_bf16 v82, v66, s[8:9]                 // 0000000056B0: DD488000 00084252
	s_setvskip 0, 0                                            // 0000000056B8: BF108080
	s_setvskip s20, 1                                          // 0000000056BC: BF108114
	global_atomic_pk_add_bf16 v82, v67, s[8:9] offset:256      // 0000000056C0: DD488100 00084352
	s_setvskip 0, 0                                            // 0000000056C8: BF108080
	s_setvskip s20, 2                                          // 0000000056CC: BF108214
	global_atomic_pk_add_bf16 v84, v68, s[8:9]                 // 0000000056D0: DD488000 00084454
	s_setvskip 0, 0                                            // 0000000056D8: BF108080
	s_setvskip s20, 2                                          // 0000000056DC: BF108214
	global_atomic_pk_add_bf16 v84, v69, s[8:9] offset:256      // 0000000056E0: DD488100 00084554
	s_setvskip 0, 0                                            // 0000000056E8: BF108080
	s_setvskip s20, 3                                          // 0000000056EC: BF108314
	global_atomic_pk_add_bf16 v86, v70, s[8:9]                 // 0000000056F0: DD488000 00084656
	s_setvskip 0, 0                                            // 0000000056F8: BF108080
	s_setvskip s20, 3                                          // 0000000056FC: BF108314
	global_atomic_pk_add_bf16 v86, v71, s[8:9] offset:256      // 000000005700: DD488100 00084756
	s_setvskip 0, 0                                            // 000000005708: BF108080
	s_add_u32 s8, s59, s8                                      // 00000000570C: 8008083B
	s_addc_u32 s9, 0, s9                                       // 000000005710: 82090980
	s_addk_i32 s80, 0x100                                      // 000000005714: B7500100
	s_cmp_lt_i32 s80, s81                                      // 000000005718: BF045150
	s_cbranch_scc0 label_0B8D                                  // 00000000571C: BF840145
	s_waitcnt vmcnt(13) lgkmcnt(0)                             // 000000005720: BF8C007D
	s_barrier                                                  // 000000005724: BF8A0000
	v_mfma_f32_16x16x128_f8f6f4 v[112:115], a[32:39], v[96:103], 0// 000000005728: D3AD0070 0A02C120
	ds_read_b32 v64, v5 offset:17152                           // 000000005730: D86C4300 40000005
	ds_read_b32 v65, v5 offset:21504                           // 000000005738: D86C5400 41000005
	ds_read_b32 v66, v5 offset:17160                           // 000000005740: D86C4308 42000005
	ds_read_b32 v67, v5 offset:21512                           // 000000005748: D86C5408 43000005
	ds_read_b32 v68, v5 offset:17184                           // 000000005750: D86C4320 44000005
	ds_read_b32 v69, v5 offset:21536                           // 000000005758: D86C5420 45000005
	ds_read_b32 v70, v5 offset:17192                           // 000000005760: D86C4328 46000005
	ds_read_b32 v71, v5 offset:21544                           // 000000005768: D86C5428 47000005
	v_mfma_f32_16x16x128_f8f6f4 v[116:119], a[40:47], v[96:103], 0// 000000005770: D3AD0074 0A02C128
	buffer_load_dword v21, v6, s[16:19], 0 offen               // 000000005778: E0501000 80041506
	buffer_load_dwordx4 a[0:3], v38, s[12:15], 0 offen         // 000000005780: E05C1000 80830026
	buffer_load_dwordx4 a[4:7], v38, s[12:15], 0 offen offset:1024// 000000005788: E05C1400 80830426
	buffer_load_dwordx4 a[8:11], v39, s[12:15], 0 offen        // 000000005790: E05C1000 80830827
	buffer_load_dwordx4 a[12:15], v39, s[12:15], 0 offen offset:1024// 000000005798: E05C1400 80830C27
	s_waitcnt vmcnt(13)                                        // 0000000057A0: BF8C0F7D
	v_mfma_f32_16x16x128_f8f6f4 v[120:123], a[48:55], v[96:103], 0// 0000000057A4: D3AD0078 0A02C130
	ds_write_b64 v4, v[128:129] offset:34560                   // 0000000057AC: D89A8700 00008004
	ds_write_b64 v4, v[130:131] offset:36736                   // 0000000057B4: D89A8F80 00008204
	ds_write_b64 v4, v[132:133] offset:38912                   // 0000000057BC: D89A9800 00008404
	ds_write_b64 v4, v[134:135] offset:41088                   // 0000000057C4: D89AA080 00008604
	v_mfma_f32_16x16x128_f8f6f4 v[124:127], a[56:63], v[96:103], 0// 0000000057CC: D3AD007C 0A02C138
	buffer_load_dwordx4 a[16:19], v40, s[12:15], 0 offen       // 0000000057D4: E05C1000 80831028
	buffer_load_dwordx4 a[20:23], v40, s[12:15], 0 offen offset:1024// 0000000057DC: E05C1400 80831428
	buffer_load_dwordx4 a[24:27], v41, s[12:15], 0 offen       // 0000000057E4: E05C1000 80831829
	buffer_load_dwordx4 a[28:31], v41, s[12:15], 0 offen offset:1024// 0000000057EC: E05C1400 80831C29
	v_mul_f32_dpp v46, v22, v32 row_newbcast:0 row_mask:0xf bank_mask:0xf// 0000000057F4: 0A5C40FA FF015016
	v_mov_b32_e32 v47, v46                                     // 0000000057FC: 7E5E032E
	v_pk_mul_f32 v[112:113], v[46:47], v[112:113]              // 000000005800: D3B14070 1802E12E
	v_pk_mul_f32 v[114:115], v[46:47], v[114:115]              // 000000005808: D3B14072 1802E52E
	v_pk_mul_f32 v[116:117], v[46:47], v[116:117]              // 000000005810: D3B14074 1802E92E
	v_pk_mul_f32 v[118:119], v[46:47], v[118:119]              // 000000005818: D3B14076 1802ED2E
	v_mul_f32_dpp v46, v22, v32 row_newbcast:1 row_mask:0xf bank_mask:0xf// 000000005820: 0A5C40FA FF015116
	v_mov_b32_e32 v47, v46                                     // 000000005828: 7E5E032E
	v_pk_mul_f32 v[120:121], v[46:47], v[120:121]              // 00000000582C: D3B14078 1802F12E
	v_pk_mul_f32 v[122:123], v[46:47], v[122:123]              // 000000005834: D3B1407A 1802F52E
	v_pk_mul_f32 v[124:125], v[46:47], v[124:125]              // 00000000583C: D3B1407C 1802F92E
	v_pk_mul_f32 v[126:127], v[46:47], v[126:127]              // 000000005844: D3B1407E 1802FD2E
	s_add_u32 s60, 0x300, s80                                  // 00000000584C: 803C50FF 00000300
	s_cmp_lt_u32 s60, s81                                      // 000000005854: BF0A513C
	s_cselect_b32 s56, s56, 0                                  // 000000005858: 85388038
	s_cselect_b32 s78, s78, 0                                  // 00000000585C: 854E804E
	s_cselect_b32 s79, s79, 0                                  // 000000005860: 854F804F
	s_add_u32 s12, s56, s12                                    // 000000005864: 800C0C38
	s_addc_u32 s13, 0, s13                                     // 000000005868: 820D0D80
	s_add_u32 s16, s79, s16                                    // 00000000586C: 8010104F
	s_addc_u32 s17, 0, s17                                     // 000000005870: 82111180
	v_mov_b32_e32 v46, v27                                     // 000000005874: 7E5C031B
	v_mov_b32_e32 v47, v27                                     // 000000005878: 7E5E031B
	v_pk_mul_f32 v[112:113], v[46:47], v[112:113]              // 00000000587C: D3B14070 1802E12E
	v_pk_mul_f32 v[114:115], v[46:47], v[114:115]              // 000000005884: D3B14072 1802E52E
	v_pk_mul_f32 v[116:117], v[46:47], v[116:117]              // 00000000588C: D3B14074 1802E92E
	v_pk_mul_f32 v[118:119], v[46:47], v[118:119]              // 000000005894: D3B14076 1802ED2E
	v_pk_mul_f32 v[120:121], v[46:47], v[120:121]              // 00000000589C: D3B14078 1802F12E
	v_pk_mul_f32 v[122:123], v[46:47], v[122:123]              // 0000000058A4: D3B1407A 1802F52E
	v_pk_mul_f32 v[124:125], v[46:47], v[124:125]              // 0000000058AC: D3B1407C 1802F92E
	v_pk_mul_f32 v[126:127], v[46:47], v[126:127]              // 0000000058B4: D3B1407E 1802FD2E
	v_cvt_pk_bf16_f32 v112, v112, v113                         // 0000000058BC: D2680070 0002E370
	v_cvt_pk_bf16_f32 v113, v114, v115                         // 0000000058C4: D2680071 0002E772
	v_cvt_pk_bf16_f32 v114, v116, v117                         // 0000000058CC: D2680072 0002EB74
	v_cvt_pk_bf16_f32 v115, v118, v119                         // 0000000058D4: D2680073 0002EF76
	v_cvt_pk_bf16_f32 v116, v120, v121                         // 0000000058DC: D2680074 0002F378
	v_cvt_pk_bf16_f32 v117, v122, v123                         // 0000000058E4: D2680075 0002F77A
	v_cvt_pk_bf16_f32 v118, v124, v125                         // 0000000058EC: D2680076 0002FB7C
	v_cvt_pk_bf16_f32 v119, v126, v127                         // 0000000058F4: D2680077 0002FF7E
	s_cmp_ge_u32 s80, 0x200                                    // 0000000058FC: BF09FF50 00000200
	s_cselect_b32 s59, 0x200, s59                              // 000000005904: 853B3BFF 00000200
	s_waitcnt lgkmcnt(0)                                       // 00000000590C: BF8CC07F
	s_barrier                                                  // 000000005910: BF8A0000
	s_setvskip s20, 0                                          // 000000005914: BF108014
	global_atomic_pk_add_bf16 v80, v64, s[8:9]                 // 000000005918: DD488000 00084050
	s_setvskip 0, 0                                            // 000000005920: BF108080
	s_setvskip s20, 0                                          // 000000005924: BF108014
	global_atomic_pk_add_bf16 v80, v65, s[8:9] offset:256      // 000000005928: DD488100 00084150
	s_setvskip 0, 0                                            // 000000005930: BF108080
	s_setvskip s20, 1                                          // 000000005934: BF108114
	global_atomic_pk_add_bf16 v82, v66, s[8:9]                 // 000000005938: DD488000 00084252
	s_setvskip 0, 0                                            // 000000005940: BF108080
	s_setvskip s20, 1                                          // 000000005944: BF108114
	global_atomic_pk_add_bf16 v82, v67, s[8:9] offset:256      // 000000005948: DD488100 00084352
	s_setvskip 0, 0                                            // 000000005950: BF108080
	s_setvskip s20, 2                                          // 000000005954: BF108214
	global_atomic_pk_add_bf16 v84, v68, s[8:9]                 // 000000005958: DD488000 00084454
	s_setvskip 0, 0                                            // 000000005960: BF108080
	s_setvskip s20, 2                                          // 000000005964: BF108214
	global_atomic_pk_add_bf16 v84, v69, s[8:9] offset:256      // 000000005968: DD488100 00084554
	s_setvskip 0, 0                                            // 000000005970: BF108080
	s_setvskip s20, 3                                          // 000000005974: BF108314
	global_atomic_pk_add_bf16 v86, v70, s[8:9]                 // 000000005978: DD488000 00084656
	s_setvskip 0, 0                                            // 000000005980: BF108080
	s_setvskip s20, 3                                          // 000000005984: BF108314
	global_atomic_pk_add_bf16 v86, v71, s[8:9] offset:256      // 000000005988: DD488100 00084756
	s_setvskip 0, 0                                            // 000000005990: BF108080
	s_add_u32 s8, s59, s8                                      // 000000005994: 8008083B
	s_addc_u32 s9, 0, s9                                       // 000000005998: 82090980
	s_addk_i32 s80, 0x100                                      // 00000000599C: B7500100
	s_cmp_lt_i32 s80, s81                                      // 0000000059A0: BF045150
	s_cbranch_scc0 label_0B8D                                  // 0000000059A4: BF8400A3
	s_waitcnt vmcnt(13) lgkmcnt(0)                             // 0000000059A8: BF8C007D
	s_barrier                                                  // 0000000059AC: BF8A0000
	v_mfma_f32_16x16x128_f8f6f4 v[128:131], a[64:71], v[96:103], 0// 0000000059B0: D3AD0080 0A02C140
	ds_read_b32 v64, v5 offset:34560                           // 0000000059B8: D86C8700 40000005
	ds_read_b32 v65, v5 offset:38912                           // 0000000059C0: D86C9800 41000005
	ds_read_b32 v66, v5 offset:34568                           // 0000000059C8: D86C8708 42000005
	ds_read_b32 v67, v5 offset:38920                           // 0000000059D0: D86C9808 43000005
	ds_read_b32 v68, v5 offset:34592                           // 0000000059D8: D86C8720 44000005
	ds_read_b32 v69, v5 offset:38944                           // 0000000059E0: D86C9820 45000005
	ds_read_b32 v70, v5 offset:34600                           // 0000000059E8: D86C8728 46000005
	ds_read_b32 v71, v5 offset:38952                           // 0000000059F0: D86C9828 47000005
	v_mfma_f32_16x16x128_f8f6f4 v[132:135], a[72:79], v[96:103], 0// 0000000059F8: D3AD0084 0A02C148
	buffer_load_dword v22, v6, s[16:19], 0 offen               // 000000005A00: E0501000 80041606
	buffer_load_dwordx4 a[32:35], v38, s[12:15], 0 offen       // 000000005A08: E05C1000 80832026
	buffer_load_dwordx4 a[36:39], v38, s[12:15], 0 offen offset:1024// 000000005A10: E05C1400 80832426
	buffer_load_dwordx4 a[40:43], v39, s[12:15], 0 offen       // 000000005A18: E05C1000 80832827
	buffer_load_dwordx4 a[44:47], v39, s[12:15], 0 offen offset:1024// 000000005A20: E05C1400 80832C27
	s_waitcnt vmcnt(13)                                        // 000000005A28: BF8C0F7D
	v_mfma_f32_16x16x128_f8f6f4 v[136:139], a[80:87], v[96:103], 0// 000000005A2C: D3AD0088 0A02C150
	ds_write_b64 v4, v[112:113] offset:17152                   // 000000005A34: D89A4300 00007004
	ds_write_b64 v4, v[114:115] offset:19328                   // 000000005A3C: D89A4B80 00007204
	ds_write_b64 v4, v[116:117] offset:21504                   // 000000005A44: D89A5400 00007404
	ds_write_b64 v4, v[118:119] offset:23680                   // 000000005A4C: D89A5C80 00007604
	v_mfma_f32_16x16x128_f8f6f4 v[140:143], a[88:95], v[96:103], 0// 000000005A54: D3AD008C 0A02C158
	buffer_load_dwordx4 a[48:51], v40, s[12:15], 0 offen       // 000000005A5C: E05C1000 80833028
	buffer_load_dwordx4 a[52:55], v40, s[12:15], 0 offen offset:1024// 000000005A64: E05C1400 80833428
	buffer_load_dwordx4 a[56:59], v41, s[12:15], 0 offen       // 000000005A6C: E05C1000 80833829
	buffer_load_dwordx4 a[60:63], v41, s[12:15], 0 offen offset:1024// 000000005A74: E05C1400 80833C29
	v_mul_f32_dpp v46, v23, v32 row_newbcast:0 row_mask:0xf bank_mask:0xf// 000000005A7C: 0A5C40FA FF015017
	v_mov_b32_e32 v47, v46                                     // 000000005A84: 7E5E032E
	v_pk_mul_f32 v[128:129], v[46:47], v[128:129]              // 000000005A88: D3B14080 1803012E
	v_pk_mul_f32 v[130:131], v[46:47], v[130:131]              // 000000005A90: D3B14082 1803052E
	v_pk_mul_f32 v[132:133], v[46:47], v[132:133]              // 000000005A98: D3B14084 1803092E
	v_pk_mul_f32 v[134:135], v[46:47], v[134:135]              // 000000005AA0: D3B14086 18030D2E
	v_mul_f32_dpp v46, v23, v32 row_newbcast:1 row_mask:0xf bank_mask:0xf// 000000005AA8: 0A5C40FA FF015117
	v_mov_b32_e32 v47, v46                                     // 000000005AB0: 7E5E032E
	v_pk_mul_f32 v[136:137], v[46:47], v[136:137]              // 000000005AB4: D3B14088 1803112E
	v_pk_mul_f32 v[138:139], v[46:47], v[138:139]              // 000000005ABC: D3B1408A 1803152E
	v_pk_mul_f32 v[140:141], v[46:47], v[140:141]              // 000000005AC4: D3B1408C 1803192E
	v_pk_mul_f32 v[142:143], v[46:47], v[142:143]              // 000000005ACC: D3B1408E 18031D2E
	s_add_u32 s60, 0x300, s80                                  // 000000005AD4: 803C50FF 00000300
	s_cmp_lt_u32 s60, s81                                      // 000000005ADC: BF0A513C
	s_cselect_b32 s56, s56, 0                                  // 000000005AE0: 85388038
	s_cselect_b32 s78, s78, 0                                  // 000000005AE4: 854E804E
	s_cselect_b32 s79, s79, 0                                  // 000000005AE8: 854F804F
	s_add_u32 s12, s56, s12                                    // 000000005AEC: 800C0C38
	s_addc_u32 s13, 0, s13                                     // 000000005AF0: 820D0D80
	s_add_u32 s16, s79, s16                                    // 000000005AF4: 8010104F
	s_addc_u32 s17, 0, s17                                     // 000000005AF8: 82111180
	v_mov_b32_e32 v46, v27                                     // 000000005AFC: 7E5C031B
	v_mov_b32_e32 v47, v27                                     // 000000005B00: 7E5E031B
	v_pk_mul_f32 v[128:129], v[46:47], v[128:129]              // 000000005B04: D3B14080 1803012E
	v_pk_mul_f32 v[130:131], v[46:47], v[130:131]              // 000000005B0C: D3B14082 1803052E
	v_pk_mul_f32 v[132:133], v[46:47], v[132:133]              // 000000005B14: D3B14084 1803092E
	v_pk_mul_f32 v[134:135], v[46:47], v[134:135]              // 000000005B1C: D3B14086 18030D2E
	v_pk_mul_f32 v[136:137], v[46:47], v[136:137]              // 000000005B24: D3B14088 1803112E
	v_pk_mul_f32 v[138:139], v[46:47], v[138:139]              // 000000005B2C: D3B1408A 1803152E
	v_pk_mul_f32 v[140:141], v[46:47], v[140:141]              // 000000005B34: D3B1408C 1803192E
	v_pk_mul_f32 v[142:143], v[46:47], v[142:143]              // 000000005B3C: D3B1408E 18031D2E
	v_cvt_pk_bf16_f32 v128, v128, v129                         // 000000005B44: D2680080 00030380
	v_cvt_pk_bf16_f32 v129, v130, v131                         // 000000005B4C: D2680081 00030782
	v_cvt_pk_bf16_f32 v130, v132, v133                         // 000000005B54: D2680082 00030B84
	v_cvt_pk_bf16_f32 v131, v134, v135                         // 000000005B5C: D2680083 00030F86
	v_cvt_pk_bf16_f32 v132, v136, v137                         // 000000005B64: D2680084 00031388
	v_cvt_pk_bf16_f32 v133, v138, v139                         // 000000005B6C: D2680085 0003178A
	v_cvt_pk_bf16_f32 v134, v140, v141                         // 000000005B74: D2680086 00031B8C
	v_cvt_pk_bf16_f32 v135, v142, v143                         // 000000005B7C: D2680087 00031F8E
	s_cmp_ge_u32 s80, 0x200                                    // 000000005B84: BF09FF50 00000200
	s_cselect_b32 s59, 0x200, s59                              // 000000005B8C: 853B3BFF 00000200
	s_waitcnt lgkmcnt(0)                                       // 000000005B94: BF8CC07F
	s_barrier                                                  // 000000005B98: BF8A0000
	s_setvskip s20, 0                                          // 000000005B9C: BF108014
	global_atomic_pk_add_bf16 v80, v64, s[8:9]                 // 000000005BA0: DD488000 00084050
	s_setvskip 0, 0                                            // 000000005BA8: BF108080
	s_setvskip s20, 0                                          // 000000005BAC: BF108014
	global_atomic_pk_add_bf16 v80, v65, s[8:9] offset:256      // 000000005BB0: DD488100 00084150
	s_setvskip 0, 0                                            // 000000005BB8: BF108080
	s_setvskip s20, 1                                          // 000000005BBC: BF108114
	global_atomic_pk_add_bf16 v82, v66, s[8:9]                 // 000000005BC0: DD488000 00084252
	s_setvskip 0, 0                                            // 000000005BC8: BF108080
	s_setvskip s20, 1                                          // 000000005BCC: BF108114
	global_atomic_pk_add_bf16 v82, v67, s[8:9] offset:256      // 000000005BD0: DD488100 00084352
	s_setvskip 0, 0                                            // 000000005BD8: BF108080
	s_setvskip s20, 2                                          // 000000005BDC: BF108214
	global_atomic_pk_add_bf16 v84, v68, s[8:9]                 // 000000005BE0: DD488000 00084454
	s_setvskip 0, 0                                            // 000000005BE8: BF108080
	s_setvskip s20, 2                                          // 000000005BEC: BF108214
	global_atomic_pk_add_bf16 v84, v69, s[8:9] offset:256      // 000000005BF0: DD488100 00084554
	s_setvskip 0, 0                                            // 000000005BF8: BF108080
	s_setvskip s20, 3                                          // 000000005BFC: BF108314
	global_atomic_pk_add_bf16 v86, v70, s[8:9]                 // 000000005C00: DD488000 00084656
	s_setvskip 0, 0                                            // 000000005C08: BF108080
	s_setvskip s20, 3                                          // 000000005C0C: BF108314
	global_atomic_pk_add_bf16 v86, v71, s[8:9] offset:256      // 000000005C10: DD488100 00084756
	s_setvskip 0, 0                                            // 000000005C18: BF108080
	s_add_u32 s8, s59, s8                                      // 000000005C1C: 8008083B
	s_addc_u32 s9, 0, s9                                       // 000000005C20: 82090980
	s_addk_i32 s80, 0x100                                      // 000000005C24: B7500100
	s_cmp_lt_i32 s80, s81                                      // 000000005C28: BF045150
	s_cbranch_scc0 label_0B8D                                  // 000000005C2C: BF840001
	s_branch label_07C0                                        // 000000005C30: BF82FC33

0000000000005c34 <label_0B8D>:
	s_nop 0                                                    // 000000005C34: BF800000
	s_nop 0                                                    // 000000005C38: BF800000
	s_branch label_13EC                                        // 000000005C3C: BF82085C

0000000000005c40 <label_0B90>:
	s_waitcnt vmcnt(35) lgkmcnt(0)                             // 000000005C40: BF8C8073
	s_barrier                                                  // 000000005C44: BF8A0000
	v_mfma_f32_16x16x128_f8f6f4 v[104:107], a[0:7], v[112:119], 0// 000000005C48: D3AD0068 0A02E100
	buffer_load_dwordx4 v[144:147], v34, s[20:23], 0 offen     // 000000005C50: E05C1000 80059022
	buffer_load_dwordx4 v[148:151], v34, s[20:23], 0 offen offset:16// 000000005C58: E05C1010 80059422
	buffer_load_dword v23, v11, s[32:35], 0 offen              // 000000005C60: E0501000 8008170B
	buffer_load_dword v26, v13, s[32:35], 0 offen              // 000000005C68: E0501000 80081A0D
	buffer_load_dwordx4 a[128:131], v36, s[24:27], 0 offen     // 000000005C70: E05C1000 80868024
	buffer_load_dwordx4 a[132:135], v36, s[24:27], 0 offen offset:1024// 000000005C78: E05C1400 80868424
	buffer_load_dwordx4 a[136:139], v37, s[24:27], 0 offen     // 000000005C80: E05C1000 80868825
	buffer_load_dwordx4 a[140:143], v37, s[24:27], 0 offen offset:1024// 000000005C88: E05C1400 80868C25
	s_waitcnt vmcnt(35)                                        // 000000005C90: BF8C8F73
	v_mfma_f32_16x16x128_f8f6f4 v[108:111], a[8:15], v[112:119], 0// 000000005C94: D3AD006C 0A02E108
	v_mul_f32_dpp v46, v21, v15 row_newbcast:0 row_mask:0xf bank_mask:0xf// 000000005C9C: 0A5C1EFA FF015015
	v_mov_b32_e32 v47, v46                                     // 000000005CA4: 7E5E032E
	v_pk_fma_f32 v[96:97], v[104:105], v[46:47], v[96:97]      // 000000005CA8: D3B04060 1D825D68
	v_pk_fma_f32 v[98:99], v[106:107], v[46:47], v[98:99]      // 000000005CB0: D3B04062 1D8A5D6A
	v_pk_fma_f32 v[100:101], v[108:109], v[46:47], v[100:101]  // 000000005CB8: D3B04064 1D925D6C
	v_pk_fma_f32 v[102:103], v[110:111], v[46:47], v[102:103]  // 000000005CC0: D3B04066 1D9A5D6E
	s_waitcnt vmcnt(33)                                        // 000000005CC8: BF8C8F71
	v_mfma_f32_16x16x128_f8f6f4 v[104:107], a[16:23], v[120:127], 0// 000000005CCC: D3AD0068 0A02F110
	buffer_load_dwordx4 a[144:147], v36, s[24:27], 0 offen offset:2048// 000000005CD4: E05C1800 80869024
	buffer_load_dwordx4 a[148:151], v36, s[24:27], 0 offen offset:3072// 000000005CDC: E05C1C00 80869424
	buffer_load_dwordx4 a[152:155], v37, s[24:27], 0 offen offset:2048// 000000005CE4: E05C1800 80869825
	buffer_load_dwordx4 a[156:159], v37, s[24:27], 0 offen offset:3072// 000000005CEC: E05C1C00 80869C25
	s_waitcnt vmcnt(35)                                        // 000000005CF4: BF8C8F73
	v_mfma_f32_16x16x128_f8f6f4 v[108:111], a[24:31], v[120:127], 0// 000000005CF8: D3AD006C 0A02F118
	v_mul_f32_dpp v46, v21, v16 row_newbcast:2 row_mask:0xf bank_mask:0xf// 000000005D00: 0A5C20FA FF015215
	v_mov_b32_e32 v47, v46                                     // 000000005D08: 7E5E032E
	v_pk_fma_f32 v[96:97], v[104:105], v[46:47], v[96:97]      // 000000005D0C: D3B04060 1D825D68
	v_pk_fma_f32 v[98:99], v[106:107], v[46:47], v[98:99]      // 000000005D14: D3B04062 1D8A5D6A
	v_pk_fma_f32 v[100:101], v[108:109], v[46:47], v[100:101]  // 000000005D1C: D3B04064 1D925D6C
	v_pk_fma_f32 v[102:103], v[110:111], v[46:47], v[102:103]  // 000000005D24: D3B04066 1D9A5D6E
	s_add_u32 s60, 0x300, s80                                  // 000000005D2C: 803C50FF 00000300
	s_cmp_lt_u32 s60, s81                                      // 000000005D34: BF0A513C
	s_cselect_b32 s4, s4, 0                                    // 000000005D38: 85048004
	s_add_u32 s32, s4, s32                                     // 000000005D3C: 80202004
	s_addc_u32 s33, 0, s33                                     // 000000005D40: 82212180
	s_waitcnt vmcnt(21)                                        // 000000005D44: BF8C4F75
	s_barrier                                                  // 000000005D48: BF8A0000
	v_mfma_f32_16x16x128_f8f6f4 v[104:107], a[32:39], v[112:119], 0// 000000005D4C: D3AD0068 0A02E120
	buffer_load_dwordx4 a[160:163], v36, s[92:95], 0 offen     // 000000005D54: E05C1000 8097A024
	buffer_load_dwordx4 a[164:167], v36, s[92:95], 0 offen offset:1024// 000000005D5C: E05C1400 8097A424
	buffer_load_dwordx4 a[168:171], v37, s[92:95], 0 offen     // 000000005D64: E05C1000 8097A825
	buffer_load_dwordx4 a[172:175], v37, s[92:95], 0 offen offset:1024// 000000005D6C: E05C1400 8097AC25
	s_waitcnt vmcnt(25)                                        // 000000005D74: BF8C4F79
	v_mfma_f32_16x16x128_f8f6f4 v[108:111], a[40:47], v[112:119], 0// 000000005D78: D3AD006C 0A02E128
	s_waitcnt vmcnt(22)                                        // 000000005D80: BF8C4F76
	v_mov_b32_e32 v30, 0                                       // 000000005D84: 7E3C0280
	v_lshlrev_b32_e32 v46, 16, v128                            // 000000005D88: 245D0090
	v_and_b32_e32 v47, 0xffff0000, v128                        // 000000005D8C: 265F00FF FFFF0000
	v_max3_f32 v30, |v47|, |v46|, v30                          // 000000005D94: D1D3031E 047A5D2F
	v_lshlrev_b32_e32 v46, 16, v129                            // 000000005D9C: 245D0290
	v_and_b32_e32 v47, 0xffff0000, v129                        // 000000005DA0: 265F02FF FFFF0000
	v_max3_f32 v30, |v47|, |v46|, v30                          // 000000005DA8: D1D3031E 047A5D2F
	v_lshlrev_b32_e32 v46, 16, v130                            // 000000005DB0: 245D0490
	v_and_b32_e32 v47, 0xffff0000, v130                        // 000000005DB4: 265F04FF FFFF0000
	v_max3_f32 v30, |v47|, |v46|, v30                          // 000000005DBC: D1D3031E 047A5D2F
	v_lshlrev_b32_e32 v46, 16, v131                            // 000000005DC4: 245D0690
	v_and_b32_e32 v47, 0xffff0000, v131                        // 000000005DC8: 265F06FF FFFF0000
	v_max3_f32 v30, |v47|, |v46|, v30                          // 000000005DD0: D1D3031E 047A5D2F
	v_lshlrev_b32_e32 v46, 16, v132                            // 000000005DD8: 245D0890
	v_and_b32_e32 v47, 0xffff0000, v132                        // 000000005DDC: 265F08FF FFFF0000
	v_max3_f32 v30, |v47|, |v46|, v30                          // 000000005DE4: D1D3031E 047A5D2F
	v_lshlrev_b32_e32 v46, 16, v133                            // 000000005DEC: 245D0A90
	v_and_b32_e32 v47, 0xffff0000, v133                        // 000000005DF0: 265F0AFF FFFF0000
	v_max3_f32 v30, |v47|, |v46|, v30                          // 000000005DF8: D1D3031E 047A5D2F
	v_lshlrev_b32_e32 v46, 16, v134                            // 000000005E00: 245D0C90
	v_and_b32_e32 v47, 0xffff0000, v134                        // 000000005E04: 265F0CFF FFFF0000
	v_max3_f32 v30, |v47|, |v46|, v30                          // 000000005E0C: D1D3031E 047A5D2F
	v_lshlrev_b32_e32 v46, 16, v135                            // 000000005E14: 245D0E90
	v_and_b32_e32 v47, 0xffff0000, v135                        // 000000005E18: 265F0EFF FFFF0000
	v_max3_f32 v30, |v47|, |v46|, v30                          // 000000005E20: D1D3031E 047A5D2F
	s_barrier                                                  // 000000005E28: BF8A0000
	v_max_f32_dpp v31, v30, v30 quad_perm:[1,2,3,0] row_mask:0xf bank_mask:0xf// 000000005E2C: 163E3CFA FF00391E
	s_nop 1                                                    // 000000005E34: BF800001
	v_max_f32_dpp v46, v31, v31 quad_perm:[2,3,0,1] row_mask:0xf bank_mask:0xf// 000000005E38: 165C3EFA FF004E1F
	s_nop 1                                                    // 000000005E40: BF800001
	v_max_f32_dpp v30, v46, v46 row_half_mirror row_mask:0xf bank_mask:0xf// 000000005E44: 163C5CFA FF01412E
	v_rcp_f32_e32 v46, v30                                     // 000000005E4C: 7E5C451E
	v_mov_b32_e32 v47, 0x43e00000                              // 000000005E50: 7E5E02FF 43E00000
	v_mul_f32_e32 v31, v47, v46                                // 000000005E58: 0A3E5D2F
	v_mov_b32_e32 v30, v31                                     // 000000005E5C: 7E3C031F
	v_lshlrev_b32_e32 v46, 16, v128                            // 000000005E60: 245D0090
	v_and_b32_e32 v47, 0xffff0000, v128                        // 000000005E64: 265F00FF FFFF0000
	v_pk_mul_f32 v[46:47], v[46:47], v[30:31]                  // 000000005E6C: D3B1402E 18023D2E
	v_cvt_pk_fp8_f32 v128, v46, v47                            // 000000005E74: D2A20080 00025F2E
	v_lshlrev_b32_e32 v46, 16, v129                            // 000000005E7C: 245D0290
	v_and_b32_e32 v47, 0xffff0000, v129                        // 000000005E80: 265F02FF FFFF0000
	v_pk_mul_f32 v[46:47], v[46:47], v[30:31]                  // 000000005E88: D3B1402E 18023D2E
	v_cvt_pk_fp8_f32 v128, v46, v47 op_sel:[0,0,1]             // 000000005E90: D2A24080 00025F2E
	v_lshlrev_b32_e32 v46, 16, v130                            // 000000005E98: 245D0490
	v_and_b32_e32 v47, 0xffff0000, v130                        // 000000005E9C: 265F04FF FFFF0000
	v_pk_mul_f32 v[46:47], v[46:47], v[30:31]                  // 000000005EA4: D3B1402E 18023D2E
	v_cvt_pk_fp8_f32 v129, v46, v47                            // 000000005EAC: D2A20081 00025F2E
	v_lshlrev_b32_e32 v46, 16, v131                            // 000000005EB4: 245D0690
	v_and_b32_e32 v47, 0xffff0000, v131                        // 000000005EB8: 265F06FF FFFF0000
	v_pk_mul_f32 v[46:47], v[46:47], v[30:31]                  // 000000005EC0: D3B1402E 18023D2E
	v_cvt_pk_fp8_f32 v129, v46, v47 op_sel:[0,0,1]             // 000000005EC8: D2A24081 00025F2E
	v_lshlrev_b32_e32 v46, 16, v132                            // 000000005ED0: 245D0890
	v_and_b32_e32 v47, 0xffff0000, v132                        // 000000005ED4: 265F08FF FFFF0000
	v_pk_mul_f32 v[46:47], v[46:47], v[30:31]                  // 000000005EDC: D3B1402E 18023D2E
	v_cvt_pk_fp8_f32 v130, v46, v47                            // 000000005EE4: D2A20082 00025F2E
	v_lshlrev_b32_e32 v46, 16, v133                            // 000000005EEC: 245D0A90
	v_and_b32_e32 v47, 0xffff0000, v133                        // 000000005EF0: 265F0AFF FFFF0000
	v_pk_mul_f32 v[46:47], v[46:47], v[30:31]                  // 000000005EF8: D3B1402E 18023D2E
	v_cvt_pk_fp8_f32 v130, v46, v47 op_sel:[0,0,1]             // 000000005F00: D2A24082 00025F2E
	v_lshlrev_b32_e32 v46, 16, v134                            // 000000005F08: 245D0C90
	v_and_b32_e32 v47, 0xffff0000, v134                        // 000000005F0C: 265F0CFF FFFF0000
	v_pk_mul_f32 v[46:47], v[46:47], v[30:31]                  // 000000005F14: D3B1402E 18023D2E
	v_cvt_pk_fp8_f32 v131, v46, v47                            // 000000005F1C: D2A20083 00025F2E
	v_lshlrev_b32_e32 v46, 16, v135                            // 000000005F24: 245D0E90
	v_and_b32_e32 v47, 0xffff0000, v135                        // 000000005F28: 265F0EFF FFFF0000
	v_pk_mul_f32 v[46:47], v[46:47], v[30:31]                  // 000000005F30: D3B1402E 18023D2E
	v_cvt_pk_fp8_f32 v131, v46, v47 op_sel:[0,0,1]             // 000000005F38: D2A24083 00025F2E
	v_lshlrev_b32_e32 v46, 4, v0                               // 000000005F40: 245C0084
	v_add_u32_e64 v46, v46, s51                                // 000000005F44: D134002E 0000672E
	ds_write_b128 v46, v[128:131]                              // 000000005F4C: D9BE0000 0000802E
	v_rcp_f32_e32 v32, v31                                     // 000000005F54: 7E40451F
	v_add_u32_e32 v46, 0, v33                                  // 000000005F58: 685C4280
	s_mov_b64 s[60:61], exec                                   // 000000005F5C: BEBC017E
	s_mov_b32 s62, 0xf0f0f0f                                   // 000000005F60: BEBE00FF 0F0F0F0F
	s_mov_b32 s63, 0xf0f0f0f                                   // 000000005F68: BEBF00FF 0F0F0F0F
	s_mov_b64 exec, s[62:63]                                   // 000000005F70: BEFE013E
	ds_write_b32 v46, v32 offset:9728                          // 000000005F74: D81A2600 0000202E
	s_mov_b64 exec, s[60:61]                                   // 000000005F7C: BEFE013C
	v_mul_f32_dpp v46, v24, v15 row_newbcast:0 row_mask:0xf bank_mask:0xf// 000000005F80: 0A5C1EFA FF015018
	v_mov_b32_e32 v47, v46                                     // 000000005F88: 7E5E032E
	v_pk_fma_f32 v[64:65], v[104:105], v[46:47], v[64:65]      // 000000005F8C: D3B04040 1D025D68
	v_pk_fma_f32 v[66:67], v[106:107], v[46:47], v[66:67]      // 000000005F94: D3B04042 1D0A5D6A
	v_pk_fma_f32 v[68:69], v[108:109], v[46:47], v[68:69]      // 000000005F9C: D3B04044 1D125D6C
	v_pk_fma_f32 v[70:71], v[110:111], v[46:47], v[70:71]      // 000000005FA4: D3B04046 1D1A5D6E
	s_waitcnt vmcnt(23)                                        // 000000005FAC: BF8C4F77
	v_mfma_f32_16x16x128_f8f6f4 v[104:107], a[48:55], v[120:127], 0// 000000005FB0: D3AD0068 0A02F130
	buffer_load_dwordx4 a[176:179], v36, s[92:95], 0 offen offset:2048// 000000005FB8: E05C1800 8097B024
	buffer_load_dwordx4 a[180:183], v36, s[92:95], 0 offen offset:3072// 000000005FC0: E05C1C00 8097B424
	buffer_load_dwordx4 a[184:187], v37, s[92:95], 0 offen offset:2048// 000000005FC8: E05C1800 8097B825
	buffer_load_dwordx4 a[188:191], v37, s[92:95], 0 offen offset:3072// 000000005FD0: E05C1C00 8097BC25
	s_waitcnt vmcnt(25)                                        // 000000005FD8: BF8C4F79
	v_mfma_f32_16x16x128_f8f6f4 v[108:111], a[56:63], v[120:127], 0// 000000005FDC: D3AD006C 0A02F138
	s_waitcnt lgkmcnt(0)                                       // 000000005FE4: BF8CC07F
	s_barrier                                                  // 000000005FE8: BF8A0000
	ds_read_b128 v[128:131], v2 offset:5376                    // 000000005FEC: D9FE1500 80000002
	ds_read_b128 v[132:135], v2 offset:5440                    // 000000005FF4: D9FE1540 84000002
	ds_read_b128 v[136:139], v2 offset:5888                    // 000000005FFC: D9FE1700 88000002
	ds_read_b128 v[140:143], v2 offset:5952                    // 000000006004: D9FE1740 8C000002
	ds_read_b32 v17, v3 offset:9728                            // 00000000600C: D86C2600 11000003
	ds_read_b32 v18, v3 offset:9984                            // 000000006014: D86C2700 12000003
	v_mul_f32_dpp v46, v24, v16 row_newbcast:2 row_mask:0xf bank_mask:0xf// 00000000601C: 0A5C20FA FF015218
	v_mov_b32_e32 v47, v46                                     // 000000006024: 7E5E032E
	v_pk_fma_f32 v[64:65], v[104:105], v[46:47], v[64:65]      // 000000006028: D3B04040 1D025D68
	v_pk_fma_f32 v[66:67], v[106:107], v[46:47], v[66:67]      // 000000006030: D3B04042 1D0A5D6A
	v_pk_fma_f32 v[68:69], v[108:109], v[46:47], v[68:69]      // 000000006038: D3B04044 1D125D6C
	v_pk_fma_f32 v[70:71], v[110:111], v[46:47], v[70:71]      // 000000006040: D3B04046 1D1A5D6E
	s_add_u32 s60, 0x300, s80                                  // 000000006048: 803C50FF 00000300
	s_cmp_lt_u32 s60, s81                                      // 000000006050: BF0A513C
	s_cselect_b32 s57, s57, 0                                  // 000000006054: 85398039
	s_add_u32 s60, 0x300, s80                                  // 000000006058: 803C50FF 00000300
	s_cmp_lt_u32 s60, s81                                      // 000000006060: BF0A513C
	s_cselect_b32 s58, s58, 0                                  // 000000006064: 853A803A
	s_cselect_b32 s90, s90, 0                                  // 000000006068: 855A805A
	s_add_u32 s20, s57, s20                                    // 00000000606C: 80141439
	s_addc_u32 s21, 0, s21                                     // 000000006070: 82151580
	s_add_u32 s24, s58, s24                                    // 000000006074: 8018183A
	s_addc_u32 s25, 0, s25                                     // 000000006078: 82191980
	s_add_u32 s92, s90, s92                                    // 00000000607C: 805C5C5A
	s_addc_u32 s93, 0, s93                                     // 000000006080: 825D5D80
	s_addk_i32 s80, 0x100                                      // 000000006084: B7500100
	s_cmp_lt_i32 s80, s81                                      // 000000006088: BF045150
	s_cbranch_scc0 label_0ECD                                  // 00000000608C: BF840229
	s_waitcnt vmcnt(35) lgkmcnt(0)                             // 000000006090: BF8C8073
	s_barrier                                                  // 000000006094: BF8A0000
	v_mfma_f32_16x16x128_f8f6f4 v[104:107], a[64:71], v[128:135], 0// 000000006098: D3AD0068 0A030140
	buffer_load_dwordx4 v[112:115], v34, s[20:23], 0 offen     // 0000000060A0: E05C1000 80057022
	buffer_load_dwordx4 v[116:119], v34, s[20:23], 0 offen offset:16// 0000000060A8: E05C1010 80057422
	buffer_load_dword v21, v11, s[32:35], 0 offen              // 0000000060B0: E0501000 8008150B
	buffer_load_dword v24, v13, s[32:35], 0 offen              // 0000000060B8: E0501000 8008180D
	buffer_load_dwordx4 a[0:3], v36, s[24:27], 0 offen         // 0000000060C0: E05C1000 80860024
	buffer_load_dwordx4 a[4:7], v36, s[24:27], 0 offen offset:1024// 0000000060C8: E05C1400 80860424
	buffer_load_dwordx4 a[8:11], v37, s[24:27], 0 offen        // 0000000060D0: E05C1000 80860825
	buffer_load_dwordx4 a[12:15], v37, s[24:27], 0 offen offset:1024// 0000000060D8: E05C1400 80860C25
	s_waitcnt vmcnt(35)                                        // 0000000060E0: BF8C8F73
	v_mfma_f32_16x16x128_f8f6f4 v[108:111], a[72:79], v[128:135], 0// 0000000060E4: D3AD006C 0A030148
	v_mul_f32_dpp v46, v22, v17 row_newbcast:0 row_mask:0xf bank_mask:0xf// 0000000060EC: 0A5C22FA FF015016
	v_mov_b32_e32 v47, v46                                     // 0000000060F4: 7E5E032E
	v_pk_fma_f32 v[96:97], v[104:105], v[46:47], v[96:97]      // 0000000060F8: D3B04060 1D825D68
	v_pk_fma_f32 v[98:99], v[106:107], v[46:47], v[98:99]      // 000000006100: D3B04062 1D8A5D6A
	v_pk_fma_f32 v[100:101], v[108:109], v[46:47], v[100:101]  // 000000006108: D3B04064 1D925D6C
	v_pk_fma_f32 v[102:103], v[110:111], v[46:47], v[102:103]  // 000000006110: D3B04066 1D9A5D6E
	s_waitcnt vmcnt(33)                                        // 000000006118: BF8C8F71
	v_mfma_f32_16x16x128_f8f6f4 v[104:107], a[80:87], v[136:143], 0// 00000000611C: D3AD0068 0A031150
	buffer_load_dwordx4 a[16:19], v36, s[24:27], 0 offen offset:2048// 000000006124: E05C1800 80861024
	buffer_load_dwordx4 a[20:23], v36, s[24:27], 0 offen offset:3072// 00000000612C: E05C1C00 80861424
	buffer_load_dwordx4 a[24:27], v37, s[24:27], 0 offen offset:2048// 000000006134: E05C1800 80861825
	buffer_load_dwordx4 a[28:31], v37, s[24:27], 0 offen offset:3072// 00000000613C: E05C1C00 80861C25
	s_waitcnt vmcnt(35)                                        // 000000006144: BF8C8F73
	v_mfma_f32_16x16x128_f8f6f4 v[108:111], a[88:95], v[136:143], 0// 000000006148: D3AD006C 0A031158
	v_mul_f32_dpp v46, v22, v18 row_newbcast:2 row_mask:0xf bank_mask:0xf// 000000006150: 0A5C24FA FF015216
	v_mov_b32_e32 v47, v46                                     // 000000006158: 7E5E032E
	v_pk_fma_f32 v[96:97], v[104:105], v[46:47], v[96:97]      // 00000000615C: D3B04060 1D825D68
	v_pk_fma_f32 v[98:99], v[106:107], v[46:47], v[98:99]      // 000000006164: D3B04062 1D8A5D6A
	v_pk_fma_f32 v[100:101], v[108:109], v[46:47], v[100:101]  // 00000000616C: D3B04064 1D925D6C
	v_pk_fma_f32 v[102:103], v[110:111], v[46:47], v[102:103]  // 000000006174: D3B04066 1D9A5D6E
	s_add_u32 s60, 0x300, s80                                  // 00000000617C: 803C50FF 00000300
	s_cmp_lt_u32 s60, s81                                      // 000000006184: BF0A513C
	s_cselect_b32 s4, s4, 0                                    // 000000006188: 85048004
	s_add_u32 s32, s4, s32                                     // 00000000618C: 80202004
	s_addc_u32 s33, 0, s33                                     // 000000006190: 82212180
	s_waitcnt vmcnt(21)                                        // 000000006194: BF8C4F75
	s_barrier                                                  // 000000006198: BF8A0000
	v_mfma_f32_16x16x128_f8f6f4 v[104:107], a[96:103], v[128:135], 0// 00000000619C: D3AD0068 0A030160
	buffer_load_dwordx4 a[32:35], v36, s[92:95], 0 offen       // 0000000061A4: E05C1000 80972024
	buffer_load_dwordx4 a[36:39], v36, s[92:95], 0 offen offset:1024// 0000000061AC: E05C1400 80972424
	buffer_load_dwordx4 a[40:43], v37, s[92:95], 0 offen       // 0000000061B4: E05C1000 80972825
	buffer_load_dwordx4 a[44:47], v37, s[92:95], 0 offen offset:1024// 0000000061BC: E05C1400 80972C25
	s_waitcnt vmcnt(25)                                        // 0000000061C4: BF8C4F79
	v_mfma_f32_16x16x128_f8f6f4 v[108:111], a[104:111], v[128:135], 0// 0000000061C8: D3AD006C 0A030168
	s_waitcnt vmcnt(22)                                        // 0000000061D0: BF8C4F76
	v_mov_b32_e32 v30, 0                                       // 0000000061D4: 7E3C0280
	v_lshlrev_b32_e32 v46, 16, v144                            // 0000000061D8: 245D2090
	v_and_b32_e32 v47, 0xffff0000, v144                        // 0000000061DC: 265F20FF FFFF0000
	v_max3_f32 v30, |v47|, |v46|, v30                          // 0000000061E4: D1D3031E 047A5D2F
	v_lshlrev_b32_e32 v46, 16, v145                            // 0000000061EC: 245D2290
	v_and_b32_e32 v47, 0xffff0000, v145                        // 0000000061F0: 265F22FF FFFF0000
	v_max3_f32 v30, |v47|, |v46|, v30                          // 0000000061F8: D1D3031E 047A5D2F
	v_lshlrev_b32_e32 v46, 16, v146                            // 000000006200: 245D2490
	v_and_b32_e32 v47, 0xffff0000, v146                        // 000000006204: 265F24FF FFFF0000
	v_max3_f32 v30, |v47|, |v46|, v30                          // 00000000620C: D1D3031E 047A5D2F
	v_lshlrev_b32_e32 v46, 16, v147                            // 000000006214: 245D2690
	v_and_b32_e32 v47, 0xffff0000, v147                        // 000000006218: 265F26FF FFFF0000
	v_max3_f32 v30, |v47|, |v46|, v30                          // 000000006220: D1D3031E 047A5D2F
	v_lshlrev_b32_e32 v46, 16, v148                            // 000000006228: 245D2890
	v_and_b32_e32 v47, 0xffff0000, v148                        // 00000000622C: 265F28FF FFFF0000
	v_max3_f32 v30, |v47|, |v46|, v30                          // 000000006234: D1D3031E 047A5D2F
	v_lshlrev_b32_e32 v46, 16, v149                            // 00000000623C: 245D2A90
	v_and_b32_e32 v47, 0xffff0000, v149                        // 000000006240: 265F2AFF FFFF0000
	v_max3_f32 v30, |v47|, |v46|, v30                          // 000000006248: D1D3031E 047A5D2F
	v_lshlrev_b32_e32 v46, 16, v150                            // 000000006250: 245D2C90
	v_and_b32_e32 v47, 0xffff0000, v150                        // 000000006254: 265F2CFF FFFF0000
	v_max3_f32 v30, |v47|, |v46|, v30                          // 00000000625C: D1D3031E 047A5D2F
	v_lshlrev_b32_e32 v46, 16, v151                            // 000000006264: 245D2E90
	v_and_b32_e32 v47, 0xffff0000, v151                        // 000000006268: 265F2EFF FFFF0000
	v_max3_f32 v30, |v47|, |v46|, v30                          // 000000006270: D1D3031E 047A5D2F
	s_barrier                                                  // 000000006278: BF8A0000
	v_max_f32_dpp v31, v30, v30 quad_perm:[1,2,3,0] row_mask:0xf bank_mask:0xf// 00000000627C: 163E3CFA FF00391E
	s_nop 1                                                    // 000000006284: BF800001
	v_max_f32_dpp v46, v31, v31 quad_perm:[2,3,0,1] row_mask:0xf bank_mask:0xf// 000000006288: 165C3EFA FF004E1F
	s_nop 1                                                    // 000000006290: BF800001
	v_max_f32_dpp v30, v46, v46 row_half_mirror row_mask:0xf bank_mask:0xf// 000000006294: 163C5CFA FF01412E
	v_rcp_f32_e32 v46, v30                                     // 00000000629C: 7E5C451E
	v_mov_b32_e32 v47, 0x43e00000                              // 0000000062A0: 7E5E02FF 43E00000
	v_mul_f32_e32 v31, v47, v46                                // 0000000062A8: 0A3E5D2F
	v_mov_b32_e32 v30, v31                                     // 0000000062AC: 7E3C031F
	v_lshlrev_b32_e32 v46, 16, v144                            // 0000000062B0: 245D2090
	v_and_b32_e32 v47, 0xffff0000, v144                        // 0000000062B4: 265F20FF FFFF0000
	v_pk_mul_f32 v[46:47], v[46:47], v[30:31]                  // 0000000062BC: D3B1402E 18023D2E
	v_cvt_pk_fp8_f32 v144, v46, v47                            // 0000000062C4: D2A20090 00025F2E
	v_lshlrev_b32_e32 v46, 16, v145                            // 0000000062CC: 245D2290
	v_and_b32_e32 v47, 0xffff0000, v145                        // 0000000062D0: 265F22FF FFFF0000
	v_pk_mul_f32 v[46:47], v[46:47], v[30:31]                  // 0000000062D8: D3B1402E 18023D2E
	v_cvt_pk_fp8_f32 v144, v46, v47 op_sel:[0,0,1]             // 0000000062E0: D2A24090 00025F2E
	v_lshlrev_b32_e32 v46, 16, v146                            // 0000000062E8: 245D2490
	v_and_b32_e32 v47, 0xffff0000, v146                        // 0000000062EC: 265F24FF FFFF0000
	v_pk_mul_f32 v[46:47], v[46:47], v[30:31]                  // 0000000062F4: D3B1402E 18023D2E
	v_cvt_pk_fp8_f32 v145, v46, v47                            // 0000000062FC: D2A20091 00025F2E
	v_lshlrev_b32_e32 v46, 16, v147                            // 000000006304: 245D2690
	v_and_b32_e32 v47, 0xffff0000, v147                        // 000000006308: 265F26FF FFFF0000
	v_pk_mul_f32 v[46:47], v[46:47], v[30:31]                  // 000000006310: D3B1402E 18023D2E
	v_cvt_pk_fp8_f32 v145, v46, v47 op_sel:[0,0,1]             // 000000006318: D2A24091 00025F2E
	v_lshlrev_b32_e32 v46, 16, v148                            // 000000006320: 245D2890
	v_and_b32_e32 v47, 0xffff0000, v148                        // 000000006324: 265F28FF FFFF0000
	v_pk_mul_f32 v[46:47], v[46:47], v[30:31]                  // 00000000632C: D3B1402E 18023D2E
	v_cvt_pk_fp8_f32 v146, v46, v47                            // 000000006334: D2A20092 00025F2E
	v_lshlrev_b32_e32 v46, 16, v149                            // 00000000633C: 245D2A90
	v_and_b32_e32 v47, 0xffff0000, v149                        // 000000006340: 265F2AFF FFFF0000
	v_pk_mul_f32 v[46:47], v[46:47], v[30:31]                  // 000000006348: D3B1402E 18023D2E
	v_cvt_pk_fp8_f32 v146, v46, v47 op_sel:[0,0,1]             // 000000006350: D2A24092 00025F2E
	v_lshlrev_b32_e32 v46, 16, v150                            // 000000006358: 245D2C90
	v_and_b32_e32 v47, 0xffff0000, v150                        // 00000000635C: 265F2CFF FFFF0000
	v_pk_mul_f32 v[46:47], v[46:47], v[30:31]                  // 000000006364: D3B1402E 18023D2E
	v_cvt_pk_fp8_f32 v147, v46, v47                            // 00000000636C: D2A20093 00025F2E
	v_lshlrev_b32_e32 v46, 16, v151                            // 000000006374: 245D2E90
	v_and_b32_e32 v47, 0xffff0000, v151                        // 000000006378: 265F2EFF FFFF0000
	v_pk_mul_f32 v[46:47], v[46:47], v[30:31]                  // 000000006380: D3B1402E 18023D2E
	v_cvt_pk_fp8_f32 v147, v46, v47 op_sel:[0,0,1]             // 000000006388: D2A24093 00025F2E
	v_lshlrev_b32_e32 v46, 4, v0                               // 000000006390: 245C0084
	v_add_u32_e64 v46, v46, s52                                // 000000006394: D134002E 0000692E
	ds_write_b128 v46, v[144:147]                              // 00000000639C: D9BE0000 0000902E
	v_rcp_f32_e32 v32, v31                                     // 0000000063A4: 7E40451F
	v_add_u32_e32 v46, 0, v33                                  // 0000000063A8: 685C4280
	s_mov_b64 s[60:61], exec                                   // 0000000063AC: BEBC017E
	s_mov_b32 s62, 0xf0f0f0f                                   // 0000000063B0: BEBE00FF 0F0F0F0F
	s_mov_b32 s63, 0xf0f0f0f                                   // 0000000063B8: BEBF00FF 0F0F0F0F
	s_mov_b64 exec, s[62:63]                                   // 0000000063C0: BEFE013E
	ds_write_b32 v46, v32 offset:15104                         // 0000000063C4: D81A3B00 0000202E
	s_mov_b64 exec, s[60:61]                                   // 0000000063CC: BEFE013C
	v_mul_f32_dpp v46, v25, v17 row_newbcast:0 row_mask:0xf bank_mask:0xf// 0000000063D0: 0A5C22FA FF015019
	v_mov_b32_e32 v47, v46                                     // 0000000063D8: 7E5E032E
	v_pk_fma_f32 v[64:65], v[104:105], v[46:47], v[64:65]      // 0000000063DC: D3B04040 1D025D68
	v_pk_fma_f32 v[66:67], v[106:107], v[46:47], v[66:67]      // 0000000063E4: D3B04042 1D0A5D6A
	v_pk_fma_f32 v[68:69], v[108:109], v[46:47], v[68:69]      // 0000000063EC: D3B04044 1D125D6C
	v_pk_fma_f32 v[70:71], v[110:111], v[46:47], v[70:71]      // 0000000063F4: D3B04046 1D1A5D6E
	s_waitcnt vmcnt(23)                                        // 0000000063FC: BF8C4F77
	v_mfma_f32_16x16x128_f8f6f4 v[104:107], a[112:119], v[136:143], 0// 000000006400: D3AD0068 0A031170
	buffer_load_dwordx4 a[48:51], v36, s[92:95], 0 offen offset:2048// 000000006408: E05C1800 80973024
	buffer_load_dwordx4 a[52:55], v36, s[92:95], 0 offen offset:3072// 000000006410: E05C1C00 80973424
	buffer_load_dwordx4 a[56:59], v37, s[92:95], 0 offen offset:2048// 000000006418: E05C1800 80973825
	buffer_load_dwordx4 a[60:63], v37, s[92:95], 0 offen offset:3072// 000000006420: E05C1C00 80973C25
	s_waitcnt vmcnt(25)                                        // 000000006428: BF8C4F79
	v_mfma_f32_16x16x128_f8f6f4 v[108:111], a[120:127], v[136:143], 0// 00000000642C: D3AD006C 0A031178
	s_waitcnt lgkmcnt(0)                                       // 000000006434: BF8CC07F
	s_barrier                                                  // 000000006438: BF8A0000
	ds_read_b128 v[144:147], v2 offset:10752                   // 00000000643C: D9FE2A00 90000002
	ds_read_b128 v[148:151], v2 offset:10816                   // 000000006444: D9FE2A40 94000002
	ds_read_b128 v[152:155], v2 offset:11264                   // 00000000644C: D9FE2C00 98000002
	ds_read_b128 v[156:159], v2 offset:11328                   // 000000006454: D9FE2C40 9C000002
	ds_read_b32 v19, v3 offset:15104                           // 00000000645C: D86C3B00 13000003
	ds_read_b32 v20, v3 offset:15360                           // 000000006464: D86C3C00 14000003
	v_mul_f32_dpp v46, v25, v18 row_newbcast:2 row_mask:0xf bank_mask:0xf// 00000000646C: 0A5C24FA FF015219
	v_mov_b32_e32 v47, v46                                     // 000000006474: 7E5E032E
	v_pk_fma_f32 v[64:65], v[104:105], v[46:47], v[64:65]      // 000000006478: D3B04040 1D025D68
	v_pk_fma_f32 v[66:67], v[106:107], v[46:47], v[66:67]      // 000000006480: D3B04042 1D0A5D6A
	v_pk_fma_f32 v[68:69], v[108:109], v[46:47], v[68:69]      // 000000006488: D3B04044 1D125D6C
	v_pk_fma_f32 v[70:71], v[110:111], v[46:47], v[70:71]      // 000000006490: D3B04046 1D1A5D6E
	s_add_u32 s60, 0x300, s80                                  // 000000006498: 803C50FF 00000300
	s_cmp_lt_u32 s60, s81                                      // 0000000064A0: BF0A513C
	s_cselect_b32 s57, s57, 0                                  // 0000000064A4: 85398039
	s_add_u32 s60, 0x300, s80                                  // 0000000064A8: 803C50FF 00000300
	s_cmp_lt_u32 s60, s81                                      // 0000000064B0: BF0A513C
	s_cselect_b32 s58, s58, 0                                  // 0000000064B4: 853A803A
	s_cselect_b32 s90, s90, 0                                  // 0000000064B8: 855A805A
	s_add_u32 s20, s57, s20                                    // 0000000064BC: 80141439
	s_addc_u32 s21, 0, s21                                     // 0000000064C0: 82151580
	s_add_u32 s24, s58, s24                                    // 0000000064C4: 8018183A
	s_addc_u32 s25, 0, s25                                     // 0000000064C8: 82191980
	s_add_u32 s92, s90, s92                                    // 0000000064CC: 805C5C5A
	s_addc_u32 s93, 0, s93                                     // 0000000064D0: 825D5D80
	s_addk_i32 s80, 0x100                                      // 0000000064D4: B7500100
	s_cmp_lt_i32 s80, s81                                      // 0000000064D8: BF045150
	s_cbranch_scc0 label_0ECD                                  // 0000000064DC: BF840115
	s_waitcnt vmcnt(35) lgkmcnt(0)                             // 0000000064E0: BF8C8073
	s_barrier                                                  // 0000000064E4: BF8A0000
	v_mfma_f32_16x16x128_f8f6f4 v[104:107], a[128:135], v[144:151], 0// 0000000064E8: D3AD0068 0A032180
	buffer_load_dwordx4 v[128:131], v34, s[20:23], 0 offen     // 0000000064F0: E05C1000 80058022
	buffer_load_dwordx4 v[132:135], v34, s[20:23], 0 offen offset:16// 0000000064F8: E05C1010 80058422
	buffer_load_dword v22, v11, s[32:35], 0 offen              // 000000006500: E0501000 8008160B
	buffer_load_dword v25, v13, s[32:35], 0 offen              // 000000006508: E0501000 8008190D
	buffer_load_dwordx4 a[64:67], v36, s[24:27], 0 offen       // 000000006510: E05C1000 80864024
	buffer_load_dwordx4 a[68:71], v36, s[24:27], 0 offen offset:1024// 000000006518: E05C1400 80864424
	buffer_load_dwordx4 a[72:75], v37, s[24:27], 0 offen       // 000000006520: E05C1000 80864825
	buffer_load_dwordx4 a[76:79], v37, s[24:27], 0 offen offset:1024// 000000006528: E05C1400 80864C25
	s_waitcnt vmcnt(35)                                        // 000000006530: BF8C8F73
	v_mfma_f32_16x16x128_f8f6f4 v[108:111], a[136:143], v[144:151], 0// 000000006534: D3AD006C 0A032188
	v_mul_f32_dpp v46, v23, v19 row_newbcast:0 row_mask:0xf bank_mask:0xf// 00000000653C: 0A5C26FA FF015017
	v_mov_b32_e32 v47, v46                                     // 000000006544: 7E5E032E
	v_pk_fma_f32 v[96:97], v[104:105], v[46:47], v[96:97]      // 000000006548: D3B04060 1D825D68
	v_pk_fma_f32 v[98:99], v[106:107], v[46:47], v[98:99]      // 000000006550: D3B04062 1D8A5D6A
	v_pk_fma_f32 v[100:101], v[108:109], v[46:47], v[100:101]  // 000000006558: D3B04064 1D925D6C
	v_pk_fma_f32 v[102:103], v[110:111], v[46:47], v[102:103]  // 000000006560: D3B04066 1D9A5D6E
	s_waitcnt vmcnt(33)                                        // 000000006568: BF8C8F71
	v_mfma_f32_16x16x128_f8f6f4 v[104:107], a[144:151], v[152:159], 0// 00000000656C: D3AD0068 0A033190
	buffer_load_dwordx4 a[80:83], v36, s[24:27], 0 offen offset:2048// 000000006574: E05C1800 80865024
	buffer_load_dwordx4 a[84:87], v36, s[24:27], 0 offen offset:3072// 00000000657C: E05C1C00 80865424
	buffer_load_dwordx4 a[88:91], v37, s[24:27], 0 offen offset:2048// 000000006584: E05C1800 80865825
	buffer_load_dwordx4 a[92:95], v37, s[24:27], 0 offen offset:3072// 00000000658C: E05C1C00 80865C25
	s_waitcnt vmcnt(35)                                        // 000000006594: BF8C8F73
	v_mfma_f32_16x16x128_f8f6f4 v[108:111], a[152:159], v[152:159], 0// 000000006598: D3AD006C 0A033198
	v_mul_f32_dpp v46, v23, v20 row_newbcast:2 row_mask:0xf bank_mask:0xf// 0000000065A0: 0A5C28FA FF015217
	v_mov_b32_e32 v47, v46                                     // 0000000065A8: 7E5E032E
	v_pk_fma_f32 v[96:97], v[104:105], v[46:47], v[96:97]      // 0000000065AC: D3B04060 1D825D68
	v_pk_fma_f32 v[98:99], v[106:107], v[46:47], v[98:99]      // 0000000065B4: D3B04062 1D8A5D6A
	v_pk_fma_f32 v[100:101], v[108:109], v[46:47], v[100:101]  // 0000000065BC: D3B04064 1D925D6C
	v_pk_fma_f32 v[102:103], v[110:111], v[46:47], v[102:103]  // 0000000065C4: D3B04066 1D9A5D6E
	s_add_u32 s60, 0x300, s80                                  // 0000000065CC: 803C50FF 00000300
	s_cmp_lt_u32 s60, s81                                      // 0000000065D4: BF0A513C
	s_cselect_b32 s4, s4, 0                                    // 0000000065D8: 85048004
	s_add_u32 s32, s4, s32                                     // 0000000065DC: 80202004
	s_addc_u32 s33, 0, s33                                     // 0000000065E0: 82212180
	s_waitcnt vmcnt(21)                                        // 0000000065E4: BF8C4F75
	s_barrier                                                  // 0000000065E8: BF8A0000
	v_mfma_f32_16x16x128_f8f6f4 v[104:107], a[160:167], v[144:151], 0// 0000000065EC: D3AD0068 0A0321A0
	buffer_load_dwordx4 a[96:99], v36, s[92:95], 0 offen       // 0000000065F4: E05C1000 80976024
	buffer_load_dwordx4 a[100:103], v36, s[92:95], 0 offen offset:1024// 0000000065FC: E05C1400 80976424
	buffer_load_dwordx4 a[104:107], v37, s[92:95], 0 offen     // 000000006604: E05C1000 80976825
	buffer_load_dwordx4 a[108:111], v37, s[92:95], 0 offen offset:1024// 00000000660C: E05C1400 80976C25
	s_waitcnt vmcnt(25)                                        // 000000006614: BF8C4F79
	v_mfma_f32_16x16x128_f8f6f4 v[108:111], a[168:175], v[144:151], 0// 000000006618: D3AD006C 0A0321A8
	s_waitcnt vmcnt(22)                                        // 000000006620: BF8C4F76
	v_mov_b32_e32 v30, 0                                       // 000000006624: 7E3C0280
	v_lshlrev_b32_e32 v46, 16, v112                            // 000000006628: 245CE090
	v_and_b32_e32 v47, 0xffff0000, v112                        // 00000000662C: 265EE0FF FFFF0000
	v_max3_f32 v30, |v47|, |v46|, v30                          // 000000006634: D1D3031E 047A5D2F
	v_lshlrev_b32_e32 v46, 16, v113                            // 00000000663C: 245CE290
	v_and_b32_e32 v47, 0xffff0000, v113                        // 000000006640: 265EE2FF FFFF0000
	v_max3_f32 v30, |v47|, |v46|, v30                          // 000000006648: D1D3031E 047A5D2F
	v_lshlrev_b32_e32 v46, 16, v114                            // 000000006650: 245CE490
	v_and_b32_e32 v47, 0xffff0000, v114                        // 000000006654: 265EE4FF FFFF0000
	v_max3_f32 v30, |v47|, |v46|, v30                          // 00000000665C: D1D3031E 047A5D2F
	v_lshlrev_b32_e32 v46, 16, v115                            // 000000006664: 245CE690
	v_and_b32_e32 v47, 0xffff0000, v115                        // 000000006668: 265EE6FF FFFF0000
	v_max3_f32 v30, |v47|, |v46|, v30                          // 000000006670: D1D3031E 047A5D2F
	v_lshlrev_b32_e32 v46, 16, v116                            // 000000006678: 245CE890
	v_and_b32_e32 v47, 0xffff0000, v116                        // 00000000667C: 265EE8FF FFFF0000
	v_max3_f32 v30, |v47|, |v46|, v30                          // 000000006684: D1D3031E 047A5D2F
	v_lshlrev_b32_e32 v46, 16, v117                            // 00000000668C: 245CEA90
	v_and_b32_e32 v47, 0xffff0000, v117                        // 000000006690: 265EEAFF FFFF0000
	v_max3_f32 v30, |v47|, |v46|, v30                          // 000000006698: D1D3031E 047A5D2F
	v_lshlrev_b32_e32 v46, 16, v118                            // 0000000066A0: 245CEC90
	v_and_b32_e32 v47, 0xffff0000, v118                        // 0000000066A4: 265EECFF FFFF0000
	v_max3_f32 v30, |v47|, |v46|, v30                          // 0000000066AC: D1D3031E 047A5D2F
	v_lshlrev_b32_e32 v46, 16, v119                            // 0000000066B4: 245CEE90
	v_and_b32_e32 v47, 0xffff0000, v119                        // 0000000066B8: 265EEEFF FFFF0000
	v_max3_f32 v30, |v47|, |v46|, v30                          // 0000000066C0: D1D3031E 047A5D2F
	s_barrier                                                  // 0000000066C8: BF8A0000
	v_max_f32_dpp v31, v30, v30 quad_perm:[1,2,3,0] row_mask:0xf bank_mask:0xf// 0000000066CC: 163E3CFA FF00391E
	s_nop 1                                                    // 0000000066D4: BF800001
	v_max_f32_dpp v46, v31, v31 quad_perm:[2,3,0,1] row_mask:0xf bank_mask:0xf// 0000000066D8: 165C3EFA FF004E1F
	s_nop 1                                                    // 0000000066E0: BF800001
	v_max_f32_dpp v30, v46, v46 row_half_mirror row_mask:0xf bank_mask:0xf// 0000000066E4: 163C5CFA FF01412E
	v_rcp_f32_e32 v46, v30                                     // 0000000066EC: 7E5C451E
	v_mov_b32_e32 v47, 0x43e00000                              // 0000000066F0: 7E5E02FF 43E00000
	v_mul_f32_e32 v31, v47, v46                                // 0000000066F8: 0A3E5D2F
	v_mov_b32_e32 v30, v31                                     // 0000000066FC: 7E3C031F
	v_lshlrev_b32_e32 v46, 16, v112                            // 000000006700: 245CE090
	v_and_b32_e32 v47, 0xffff0000, v112                        // 000000006704: 265EE0FF FFFF0000
	v_pk_mul_f32 v[46:47], v[46:47], v[30:31]                  // 00000000670C: D3B1402E 18023D2E
	v_cvt_pk_fp8_f32 v112, v46, v47                            // 000000006714: D2A20070 00025F2E
	v_lshlrev_b32_e32 v46, 16, v113                            // 00000000671C: 245CE290
	v_and_b32_e32 v47, 0xffff0000, v113                        // 000000006720: 265EE2FF FFFF0000
	v_pk_mul_f32 v[46:47], v[46:47], v[30:31]                  // 000000006728: D3B1402E 18023D2E
	v_cvt_pk_fp8_f32 v112, v46, v47 op_sel:[0,0,1]             // 000000006730: D2A24070 00025F2E
	v_lshlrev_b32_e32 v46, 16, v114                            // 000000006738: 245CE490
	v_and_b32_e32 v47, 0xffff0000, v114                        // 00000000673C: 265EE4FF FFFF0000
	v_pk_mul_f32 v[46:47], v[46:47], v[30:31]                  // 000000006744: D3B1402E 18023D2E
	v_cvt_pk_fp8_f32 v113, v46, v47                            // 00000000674C: D2A20071 00025F2E
	v_lshlrev_b32_e32 v46, 16, v115                            // 000000006754: 245CE690
	v_and_b32_e32 v47, 0xffff0000, v115                        // 000000006758: 265EE6FF FFFF0000
	v_pk_mul_f32 v[46:47], v[46:47], v[30:31]                  // 000000006760: D3B1402E 18023D2E
	v_cvt_pk_fp8_f32 v113, v46, v47 op_sel:[0,0,1]             // 000000006768: D2A24071 00025F2E
	v_lshlrev_b32_e32 v46, 16, v116                            // 000000006770: 245CE890
	v_and_b32_e32 v47, 0xffff0000, v116                        // 000000006774: 265EE8FF FFFF0000
	v_pk_mul_f32 v[46:47], v[46:47], v[30:31]                  // 00000000677C: D3B1402E 18023D2E
	v_cvt_pk_fp8_f32 v114, v46, v47                            // 000000006784: D2A20072 00025F2E
	v_lshlrev_b32_e32 v46, 16, v117                            // 00000000678C: 245CEA90
	v_and_b32_e32 v47, 0xffff0000, v117                        // 000000006790: 265EEAFF FFFF0000
	v_pk_mul_f32 v[46:47], v[46:47], v[30:31]                  // 000000006798: D3B1402E 18023D2E
	v_cvt_pk_fp8_f32 v114, v46, v47 op_sel:[0,0,1]             // 0000000067A0: D2A24072 00025F2E
	v_lshlrev_b32_e32 v46, 16, v118                            // 0000000067A8: 245CEC90
	v_and_b32_e32 v47, 0xffff0000, v118                        // 0000000067AC: 265EECFF FFFF0000
	v_pk_mul_f32 v[46:47], v[46:47], v[30:31]                  // 0000000067B4: D3B1402E 18023D2E
	v_cvt_pk_fp8_f32 v115, v46, v47                            // 0000000067BC: D2A20073 00025F2E
	v_lshlrev_b32_e32 v46, 16, v119                            // 0000000067C4: 245CEE90
	v_and_b32_e32 v47, 0xffff0000, v119                        // 0000000067C8: 265EEEFF FFFF0000
	v_pk_mul_f32 v[46:47], v[46:47], v[30:31]                  // 0000000067D0: D3B1402E 18023D2E
	v_cvt_pk_fp8_f32 v115, v46, v47 op_sel:[0,0,1]             // 0000000067D8: D2A24073 00025F2E
	v_lshlrev_b32_e32 v46, 4, v0                               // 0000000067E0: 245C0084
	v_add_u32_e64 v46, v46, s50                                // 0000000067E4: D134002E 0000652E
	ds_write_b128 v46, v[112:115]                              // 0000000067EC: D9BE0000 0000702E
	v_rcp_f32_e32 v32, v31                                     // 0000000067F4: 7E40451F
	v_add_u32_e32 v46, 0, v33                                  // 0000000067F8: 685C4280
	s_mov_b64 s[60:61], exec                                   // 0000000067FC: BEBC017E
	s_mov_b32 s62, 0xf0f0f0f                                   // 000000006800: BEBE00FF 0F0F0F0F
	s_mov_b32 s63, 0xf0f0f0f                                   // 000000006808: BEBF00FF 0F0F0F0F
	s_mov_b64 exec, s[62:63]                                   // 000000006810: BEFE013E
	ds_write_b32 v46, v32 offset:4352                          // 000000006814: D81A1100 0000202E
	s_mov_b64 exec, s[60:61]                                   // 00000000681C: BEFE013C
	v_mul_f32_dpp v46, v26, v19 row_newbcast:0 row_mask:0xf bank_mask:0xf// 000000006820: 0A5C26FA FF01501A
	v_mov_b32_e32 v47, v46                                     // 000000006828: 7E5E032E
	v_pk_fma_f32 v[64:65], v[104:105], v[46:47], v[64:65]      // 00000000682C: D3B04040 1D025D68
	v_pk_fma_f32 v[66:67], v[106:107], v[46:47], v[66:67]      // 000000006834: D3B04042 1D0A5D6A
	v_pk_fma_f32 v[68:69], v[108:109], v[46:47], v[68:69]      // 00000000683C: D3B04044 1D125D6C
	v_pk_fma_f32 v[70:71], v[110:111], v[46:47], v[70:71]      // 000000006844: D3B04046 1D1A5D6E
	s_waitcnt vmcnt(23)                                        // 00000000684C: BF8C4F77
	v_mfma_f32_16x16x128_f8f6f4 v[104:107], a[176:183], v[152:159], 0// 000000006850: D3AD0068 0A0331B0
	buffer_load_dwordx4 a[112:115], v36, s[92:95], 0 offen offset:2048// 000000006858: E05C1800 80977024
	buffer_load_dwordx4 a[116:119], v36, s[92:95], 0 offen offset:3072// 000000006860: E05C1C00 80977424
	buffer_load_dwordx4 a[120:123], v37, s[92:95], 0 offen offset:2048// 000000006868: E05C1800 80977825
	buffer_load_dwordx4 a[124:127], v37, s[92:95], 0 offen offset:3072// 000000006870: E05C1C00 80977C25
	s_waitcnt vmcnt(25)                                        // 000000006878: BF8C4F79
	v_mfma_f32_16x16x128_f8f6f4 v[108:111], a[184:191], v[152:159], 0// 00000000687C: D3AD006C 0A0331B8
	s_waitcnt lgkmcnt(0)                                       // 000000006884: BF8CC07F
	s_barrier                                                  // 000000006888: BF8A0000
	ds_read_b128 v[112:115], v2                                // 00000000688C: D9FE0000 70000002
	ds_read_b128 v[116:119], v2 offset:64                      // 000000006894: D9FE0040 74000002
	ds_read_b128 v[120:123], v2 offset:512                     // 00000000689C: D9FE0200 78000002
	ds_read_b128 v[124:127], v2 offset:576                     // 0000000068A4: D9FE0240 7C000002
	ds_read_b32 v15, v3 offset:4352                            // 0000000068AC: D86C1100 0F000003
	ds_read_b32 v16, v3 offset:4608                            // 0000000068B4: D86C1200 10000003
	v_mul_f32_dpp v46, v26, v20 row_newbcast:2 row_mask:0xf bank_mask:0xf// 0000000068BC: 0A5C28FA FF01521A
	v_mov_b32_e32 v47, v46                                     // 0000000068C4: 7E5E032E
	v_pk_fma_f32 v[64:65], v[104:105], v[46:47], v[64:65]      // 0000000068C8: D3B04040 1D025D68
	v_pk_fma_f32 v[66:67], v[106:107], v[46:47], v[66:67]      // 0000000068D0: D3B04042 1D0A5D6A
	v_pk_fma_f32 v[68:69], v[108:109], v[46:47], v[68:69]      // 0000000068D8: D3B04044 1D125D6C
	v_pk_fma_f32 v[70:71], v[110:111], v[46:47], v[70:71]      // 0000000068E0: D3B04046 1D1A5D6E
	s_add_u32 s60, 0x300, s80                                  // 0000000068E8: 803C50FF 00000300
	s_cmp_lt_u32 s60, s81                                      // 0000000068F0: BF0A513C
	s_cselect_b32 s57, s57, 0                                  // 0000000068F4: 85398039
	s_add_u32 s60, 0x300, s80                                  // 0000000068F8: 803C50FF 00000300
	s_cmp_lt_u32 s60, s81                                      // 000000006900: BF0A513C
	s_cselect_b32 s58, s58, 0                                  // 000000006904: 853A803A
	s_cselect_b32 s90, s90, 0                                  // 000000006908: 855A805A
	s_add_u32 s20, s57, s20                                    // 00000000690C: 80141439
	s_addc_u32 s21, 0, s21                                     // 000000006910: 82151580
	s_add_u32 s24, s58, s24                                    // 000000006914: 8018183A
	s_addc_u32 s25, 0, s25                                     // 000000006918: 82191980
	s_add_u32 s92, s90, s92                                    // 00000000691C: 805C5C5A
	s_addc_u32 s93, 0, s93                                     // 000000006920: 825D5D80
	s_addk_i32 s80, 0x100                                      // 000000006924: B7500100
	s_cmp_lt_i32 s80, s81                                      // 000000006928: BF045150
	s_cbranch_scc0 label_0ECD                                  // 00000000692C: BF840001
	s_branch label_0B90                                        // 000000006930: BF82FCC3

0000000000006934 <label_0ECD>:
	s_mov_b32 s20, 0                                           // 000000006934: BE940080
	s_cmp_lt_u32 s89, s66                                      // 000000006938: BF0A4259
	s_cselect_b32 s60, 0, 1                                    // 00000000693C: 853C8180
	s_lshl1_add_u32 s20, s20, s60                              // 000000006940: 97143C14
	s_cmp_lt_u32 s88, s66                                      // 000000006944: BF0A4258
	s_cselect_b32 s60, 0, 1                                    // 000000006948: 853C8180
	s_lshl1_add_u32 s20, s20, s60                              // 00000000694C: 97143C14
	s_cmp_lt_u32 s87, s66                                      // 000000006950: BF0A4257
	s_cselect_b32 s60, 0, 1                                    // 000000006954: 853C8180
	s_lshl1_add_u32 s20, s20, s60                              // 000000006958: 97143C14
	s_cmp_lt_u32 s86, s66                                      // 00000000695C: BF0A4256
	s_cselect_b32 s60, 0, 1                                    // 000000006960: 853C8180
	s_lshl1_add_u32 s20, s20, s60                              // 000000006964: 97143C14
	s_cmp_lt_u32 s85, s66                                      // 000000006968: BF0A4255
	s_cselect_b32 s60, 0, 1                                    // 00000000696C: 853C8180
	s_lshl1_add_u32 s20, s20, s60                              // 000000006970: 97143C14
	s_cmp_lt_u32 s84, s66                                      // 000000006974: BF0A4254
	s_cselect_b32 s60, 0, 1                                    // 000000006978: 853C8180
	s_lshl1_add_u32 s20, s20, s60                              // 00000000697C: 97143C14
	s_cmp_lt_u32 s83, s66                                      // 000000006980: BF0A4253
	s_cselect_b32 s60, 0, 1                                    // 000000006984: 853C8180
	s_lshl1_add_u32 s20, s20, s60                              // 000000006988: 97143C14
	s_cmp_lt_u32 s82, s66                                      // 00000000698C: BF0A4252
	s_cselect_b32 s60, 0, 1                                    // 000000006990: 853C8180
	s_lshl1_add_u32 s20, s20, s60                              // 000000006994: 97143C14
	s_waitcnt vmcnt(4)                                         // 000000006998: BF8C0F74
	buffer_load_dword v21, v6, s[16:19], 0 offen               // 00000000699C: E0501000 80041506
	s_add_u32 s16, s79, s16                                    // 0000000069A4: 8010104F
	s_addc_u32 s17, 0, s17                                     // 0000000069A8: 82111180
	buffer_load_dwordx4 a[0:3], v38, s[12:15], 0 offen         // 0000000069AC: E05C1000 80830026
	buffer_load_dwordx4 a[4:7], v38, s[12:15], 0 offen offset:1024// 0000000069B4: E05C1400 80830426
	buffer_load_dwordx4 a[8:11], v39, s[12:15], 0 offen        // 0000000069BC: E05C1000 80830827
	buffer_load_dwordx4 a[12:15], v39, s[12:15], 0 offen offset:1024// 0000000069C4: E05C1400 80830C27
	v_mul_f32_e32 v46, v96, v96                                // 0000000069CC: 0A5CC160
	v_mul_f32_e32 v47, v97, v97                                // 0000000069D0: 0A5EC361
	v_mul_f32_e32 v48, v98, v98                                // 0000000069D4: 0A60C562
	v_mul_f32_e32 v49, v99, v99                                // 0000000069D8: 0A62C763
	v_fma_f32 v46, v46, s77, v1                                // 0000000069DC: D1CB002E 04049B2E
	v_fma_f32 v47, v47, s77, v1                                // 0000000069E4: D1CB002F 04049B2F
	v_fma_f32 v48, v48, s77, v1                                // 0000000069EC: D1CB0030 04049B30
	v_fma_f32 v49, v49, s77, v1                                // 0000000069F4: D1CB0031 04049B31
	v_mul_f32_e32 v46, v46, v96                                // 0000000069FC: 0A5CC12E
	v_mul_f32_e32 v47, v47, v97                                // 000000006A00: 0A5EC32F
	v_mul_f32_e32 v48, v48, v98                                // 000000006A04: 0A60C530
	v_mul_f32_e32 v49, v49, v99                                // 000000006A08: 0A62C731
	v_mul_f32_e64 v46, v46, s6                                 // 000000006A0C: D105002E 00000D2E
	v_mul_f32_e64 v47, v47, s6                                 // 000000006A14: D105002F 00000D2F
	v_mul_f32_e64 v48, v48, s6                                 // 000000006A1C: D1050030 00000D30
	v_mul_f32_e64 v49, v49, s6                                 // 000000006A24: D1050031 00000D31
	v_exp_f32_e32 v46, v46                                     // 000000006A2C: 7E5C412E
	v_exp_f32_e32 v47, v47                                     // 000000006A30: 7E5E412F
	v_exp_f32_e32 v48, v48                                     // 000000006A34: 7E604130
	v_exp_f32_e32 v49, v49                                     // 000000006A38: 7E624131
	buffer_load_dwordx4 a[16:19], v40, s[12:15], 0 offen       // 000000006A3C: E05C1000 80831028
	buffer_load_dwordx4 a[20:23], v40, s[12:15], 0 offen offset:1024// 000000006A44: E05C1400 80831428
	buffer_load_dwordx4 a[24:27], v41, s[12:15], 0 offen       // 000000006A4C: E05C1000 80831829
	buffer_load_dwordx4 a[28:31], v41, s[12:15], 0 offen offset:1024// 000000006A54: E05C1400 80831C29
	s_add_u32 s12, s56, s12                                    // 000000006A5C: 800C0C38
	s_addc_u32 s13, 0, s13                                     // 000000006A60: 820D0D80
	v_add_f32_e64 v46, v46, 1.0                                // 000000006A64: D101002E 0001E52E
	v_add_f32_e64 v47, v47, 1.0                                // 000000006A6C: D101002F 0001E52F
	v_add_f32_e64 v48, v48, 1.0                                // 000000006A74: D1010030 0001E530
	v_add_f32_e64 v49, v49, 1.0                                // 000000006A7C: D1010031 0001E531
	v_rcp_f32_e32 v46, v46                                     // 000000006A84: 7E5C452E
	v_rcp_f32_e32 v47, v47                                     // 000000006A88: 7E5E452F
	v_rcp_f32_e32 v48, v48                                     // 000000006A8C: 7E604530
	v_rcp_f32_e32 v49, v49                                     // 000000006A90: 7E624531
	v_mul_f32_e32 v96, v96, v46                                // 000000006A94: 0AC05D60
	v_mul_f32_e32 v97, v97, v47                                // 000000006A98: 0AC25F61
	v_mul_f32_e32 v98, v98, v48                                // 000000006A9C: 0AC46162
	v_mul_f32_e32 v99, v99, v49                                // 000000006AA0: 0AC66363
	v_mul_f32_e32 v96, v96, v64                                // 000000006AA4: 0AC08160
	v_mul_f32_e32 v97, v97, v65                                // 000000006AA8: 0AC28361
	v_mul_f32_e32 v98, v98, v66                                // 000000006AAC: 0AC48562
	v_mul_f32_e32 v99, v99, v67                                // 000000006AB0: 0AC68763
	s_waitcnt vmcnt(4)                                         // 000000006AB4: BF8C0F74
	buffer_load_dword v22, v6, s[16:19], 0 offen               // 000000006AB8: E0501000 80041606
	s_add_u32 s16, s79, s16                                    // 000000006AC0: 8010104F
	s_addc_u32 s17, 0, s17                                     // 000000006AC4: 82111180
	buffer_load_dwordx4 a[32:35], v38, s[12:15], 0 offen       // 000000006AC8: E05C1000 80832026
	buffer_load_dwordx4 a[36:39], v38, s[12:15], 0 offen offset:1024// 000000006AD0: E05C1400 80832426
	buffer_load_dwordx4 a[40:43], v39, s[12:15], 0 offen       // 000000006AD8: E05C1000 80832827
	buffer_load_dwordx4 a[44:47], v39, s[12:15], 0 offen offset:1024// 000000006AE0: E05C1400 80832C27
	v_mul_f32_e32 v46, v100, v100                              // 000000006AE8: 0A5CC964
	v_mul_f32_e32 v47, v101, v101                              // 000000006AEC: 0A5ECB65
	v_mul_f32_e32 v48, v102, v102                              // 000000006AF0: 0A60CD66
	v_mul_f32_e32 v49, v103, v103                              // 000000006AF4: 0A62CF67
	v_fma_f32 v46, v46, s77, v1                                // 000000006AF8: D1CB002E 04049B2E
	v_fma_f32 v47, v47, s77, v1                                // 000000006B00: D1CB002F 04049B2F
	v_fma_f32 v48, v48, s77, v1                                // 000000006B08: D1CB0030 04049B30
	v_fma_f32 v49, v49, s77, v1                                // 000000006B10: D1CB0031 04049B31
	v_mul_f32_e32 v46, v46, v100                               // 000000006B18: 0A5CC92E
	v_mul_f32_e32 v47, v47, v101                               // 000000006B1C: 0A5ECB2F
	v_mul_f32_e32 v48, v48, v102                               // 000000006B20: 0A60CD30
	v_mul_f32_e32 v49, v49, v103                               // 000000006B24: 0A62CF31
	v_mul_f32_e64 v46, v46, s6                                 // 000000006B28: D105002E 00000D2E
	v_mul_f32_e64 v47, v47, s6                                 // 000000006B30: D105002F 00000D2F
	v_mul_f32_e64 v48, v48, s6                                 // 000000006B38: D1050030 00000D30
	v_mul_f32_e64 v49, v49, s6                                 // 000000006B40: D1050031 00000D31
	v_exp_f32_e32 v46, v46                                     // 000000006B48: 7E5C412E
	v_exp_f32_e32 v47, v47                                     // 000000006B4C: 7E5E412F
	v_exp_f32_e32 v48, v48                                     // 000000006B50: 7E604130
	v_exp_f32_e32 v49, v49                                     // 000000006B54: 7E624131
	buffer_load_dwordx4 a[48:51], v40, s[12:15], 0 offen       // 000000006B58: E05C1000 80833028
	buffer_load_dwordx4 a[52:55], v40, s[12:15], 0 offen offset:1024// 000000006B60: E05C1400 80833428
	buffer_load_dwordx4 a[56:59], v41, s[12:15], 0 offen       // 000000006B68: E05C1000 80833829
	buffer_load_dwordx4 a[60:63], v41, s[12:15], 0 offen offset:1024// 000000006B70: E05C1400 80833C29
	s_add_u32 s12, s56, s12                                    // 000000006B78: 800C0C38
	s_addc_u32 s13, 0, s13                                     // 000000006B7C: 820D0D80
	v_add_f32_e64 v46, v46, 1.0                                // 000000006B80: D101002E 0001E52E
	v_add_f32_e64 v47, v47, 1.0                                // 000000006B88: D101002F 0001E52F
	v_add_f32_e64 v48, v48, 1.0                                // 000000006B90: D1010030 0001E530
	v_add_f32_e64 v49, v49, 1.0                                // 000000006B98: D1010031 0001E531
	v_rcp_f32_e32 v46, v46                                     // 000000006BA0: 7E5C452E
	v_rcp_f32_e32 v47, v47                                     // 000000006BA4: 7E5E452F
	v_rcp_f32_e32 v48, v48                                     // 000000006BA8: 7E604530
	v_rcp_f32_e32 v49, v49                                     // 000000006BAC: 7E624531
	v_mul_f32_e32 v100, v100, v46                              // 000000006BB0: 0AC85D64
	v_mul_f32_e32 v101, v101, v47                              // 000000006BB4: 0ACA5F65
	v_mul_f32_e32 v102, v102, v48                              // 000000006BB8: 0ACC6166
	v_mul_f32_e32 v103, v103, v49                              // 000000006BBC: 0ACE6367
	v_mul_f32_e32 v100, v100, v68                              // 000000006BC0: 0AC88964
	v_mul_f32_e32 v101, v101, v69                              // 000000006BC4: 0ACA8B65
	v_mul_f32_e32 v102, v102, v70                              // 000000006BC8: 0ACC8D66
	v_mul_f32_e32 v103, v103, v71                              // 000000006BCC: 0ACE8F67
	v_lshlrev_b32_e32 v46, 2, v0                               // 000000006BD0: 245C0082
	s_mul_i32 s60, s82, s71                                    // 000000006BD4: 923C4752
	v_add_u32_e64 v80, v46, s60                                // 000000006BD8: D1340050 0000792E
	v_mov_b32_e32 v81, 0                                       // 000000006BE0: 7EA20280
	s_mul_i32 s60, s83, s71                                    // 000000006BE4: 923C4753
	v_add_u32_e64 v82, v46, s60                                // 000000006BE8: D1340052 0000792E
	v_mov_b32_e32 v83, 0                                       // 000000006BF0: 7EA60280
	s_mul_i32 s60, s84, s71                                    // 000000006BF4: 923C4754
	v_add_u32_e64 v84, v46, s60                                // 000000006BF8: D1340054 0000792E
	v_mov_b32_e32 v85, 0                                       // 000000006C00: 7EAA0280
	s_mul_i32 s60, s85, s71                                    // 000000006C04: 923C4755
	v_add_u32_e64 v86, v46, s60                                // 000000006C08: D1340056 0000792E
	v_mov_b32_e32 v87, 0                                       // 000000006C10: 7EAE0280
	v_mov_b32_e32 v30, 0x358637bd                              // 000000006C14: 7E3C02FF 358637BD
	v_max3_f32 v30, |v96|, |v97|, v30                          // 000000006C1C: D1D3031E 047AC360
	v_max3_f32 v30, |v98|, |v99|, v30                          // 000000006C24: D1D3031E 047AC762
	v_max3_f32 v30, |v100|, |v101|, v30                        // 000000006C2C: D1D3031E 047ACB64
	v_max3_f32 v30, |v102|, |v103|, v30                        // 000000006C34: D1D3031E 047ACF66
	v_mov_b32_e32 v46, v30                                     // 000000006C3C: 7E5C031E
	s_nop 1                                                    // 000000006C40: BF800001
	v_permlane32_swap_b32_e32 v46, v30                         // 000000006C44: 7E5CB51E
	v_max_f32_e32 v30, v46, v30                                // 000000006C48: 163C3D2E
	v_mov_b32_e32 v46, v30                                     // 000000006C4C: 7E5C031E
	s_nop 1                                                    // 000000006C50: BF800001
	v_permlane16_swap_b32_e32 v46, v30                         // 000000006C54: 7E5CB31E
	v_max_f32_e32 v30, v46, v30                                // 000000006C58: 163C3D2E
	v_lshlrev_b32_e32 v46, 2, v0                               // 000000006C5C: 245C0082
	s_mul_i32 s60, 64, s7                                      // 000000006C60: 923C07C0
	v_add_u32_e32 v46, s60, v46                                // 000000006C64: 685C5C3C
	s_mov_b32 s60, 0xffff                                      // 000000006C68: BEBC00FF 0000FFFF
	s_mov_b32 s61, 0                                           // 000000006C70: BEBD0080
	s_mov_b64 exec, s[60:61]                                   // 000000006C74: BEFE013C
	ds_write_b32 v46, v30 offset:16128                         // 000000006C78: D81A3F00 00001E2E
	s_mov_b32 s60, -1                                          // 000000006C80: BEBC00C1
	s_mov_b32 s61, -1                                          // 000000006C84: BEBD00C1
	s_mov_b64 exec, s[60:61]                                   // 000000006C88: BEFE013C
	s_waitcnt lgkmcnt(0)                                       // 000000006C8C: BF8CC07F
	s_barrier                                                  // 000000006C90: BF8A0000
	v_lshlrev_b32_e32 v46, 2, v0                               // 000000006C94: 245C0082
	ds_read_b32 v104, v46 offset:16128                         // 000000006C98: D86C3F00 6800002E
	s_waitcnt lgkmcnt(0)                                       // 000000006CA0: BF8CC07F
	v_mov_b32_e32 v46, v104                                    // 000000006CA4: 7E5C0368
	s_nop 1                                                    // 000000006CA8: BF800001
	v_permlane32_swap_b32_e32 v46, v104                        // 000000006CAC: 7E5CB568
	v_max_f32_e32 v104, v46, v104                              // 000000006CB0: 16D0D12E
	v_mov_b32_e32 v46, v104                                    // 000000006CB4: 7E5C0368
	s_nop 1                                                    // 000000006CB8: BF800001
	v_permlane16_swap_b32_e32 v46, v104                        // 000000006CBC: 7E5CB368
	v_max_f32_e32 v104, v46, v104                              // 000000006CC0: 16D0D12E
	v_max_f32_e32 v30, v104, v30                               // 000000006CC4: 163C3D68
	v_rcp_f32_e32 v30, v30                                     // 000000006CC8: 7E3C451E
	v_mov_b32_e32 v46, 0x43e00000                              // 000000006CCC: 7E5C02FF 43E00000
	v_mul_f32_e32 v30, v46, v30                                // 000000006CD4: 0A3C3D2E
	v_mul_f32_e32 v96, v30, v96                                // 000000006CD8: 0AC0C11E
	v_mul_f32_e32 v97, v30, v97                                // 000000006CDC: 0AC2C31E
	v_mul_f32_e32 v98, v30, v98                                // 000000006CE0: 0AC4C51E
	v_mul_f32_e32 v99, v30, v99                                // 000000006CE4: 0AC6C71E
	v_cvt_pk_fp8_f32 v96, v96, v97                             // 000000006CE8: D2A20060 0002C360
	v_cvt_pk_fp8_f32 v96, v98, v99 op_sel:[0,0,1]              // 000000006CF0: D2A24060 0002C762
	v_mul_f32_e32 v100, v30, v100                              // 000000006CF8: 0AC8C91E
	v_mul_f32_e32 v101, v30, v101                              // 000000006CFC: 0ACACB1E
	v_mul_f32_e32 v102, v30, v102                              // 000000006D00: 0ACCCD1E
	v_mul_f32_e32 v103, v30, v103                              // 000000006D04: 0ACECF1E
	v_cvt_pk_fp8_f32 v97, v100, v101                           // 000000006D08: D2A20061 0002CB64
	v_cvt_pk_fp8_f32 v97, v102, v103 op_sel:[0,0,1]            // 000000006D10: D2A24061 0002CF66
	v_rcp_f32_e32 v32, v30                                     // 000000006D18: 7E40451E
	v_nop                                                      // 000000006D1C: 7E000000
	v_lshrrev_b32_e32 v46, 5, v0                               // 000000006D20: 205C0085
	v_lshlrev_b32_e32 v47, 6, v46                              // 000000006D24: 245E5C86
	v_and_b32_e32 v46, 31, v0                                  // 000000006D28: 265C009F
	v_lshrrev_b32_e32 v48, 4, v46                              // 000000006D2C: 20605C84
	v_add_u32_e32 v47, v48, v47                                // 000000006D30: 685E5F30
	v_and_b32_e32 v46, 15, v0                                  // 000000006D34: 265C008F
	v_lshlrev_b32_e32 v46, 1, v46                              // 000000006D38: 245C5C81
	v_add_u32_e32 v47, v46, v47                                // 000000006D3C: 685E5F2E
	v_lshlrev_b32_e32 v46, 2, v47                              // 000000006D40: 245C5E82
	s_mov_b32 s60, 0                                           // 000000006D44: BEBC0080
	s_lshr_b32 s61, s7, 1                                      // 000000006D48: 8F3D8107
	s_mul_i32 s61, s61, 0x200                                  // 000000006D4C: 923DFF3D 00000200
	s_add_u32 s60, s61, s60                                    // 000000006D54: 803C3C3D
	s_and_b32 s61, s7, 1                                       // 000000006D58: 863D8107
	s_mul_i32 s61, s61, 0x80                                   // 000000006D5C: 923DFF3D 00000080
	s_add_u32 s60, s61, s60                                    // 000000006D64: 803C3C3D
	v_add_u32_e64 v46, v46, s60                                // 000000006D68: D134002E 0000792E
	ds_write_b32 v46, v96 offset:17152                         // 000000006D70: D81A4300 0000602E
	ds_write_b32 v46, v97 offset:18176                         // 000000006D78: D81A4700 0000612E
	s_waitcnt lgkmcnt(0)                                       // 000000006D80: BF8CC07F
	s_barrier                                                  // 000000006D84: BF8A0000
	v_and_b32_e32 v46, 31, v0                                  // 000000006D88: 265C009F
	v_lshrrev_b32_e32 v46, 4, v46                              // 000000006D8C: 205C5C84
	v_lshlrev_b32_e32 v47, 5, v46                              // 000000006D90: 245E5C85
	v_lshrrev_b32_e32 v46, 5, v0                               // 000000006D94: 205C0085
	v_lshlrev_b32_e32 v46, 7, v46                              // 000000006D98: 245C5C87
	v_add_u32_e32 v47, v46, v47                                // 000000006D9C: 685E5F2E
	v_and_b32_e32 v46, 15, v0                                  // 000000006DA0: 265C008F
	v_lshlrev_b32_e32 v46, 1, v46                              // 000000006DA4: 245C5C81
	v_add_u32_e32 v47, v46, v47                                // 000000006DA8: 685E5F2E
	v_lshlrev_b32_e32 v46, 2, v47                              // 000000006DAC: 245C5E82
	ds_read_b64 v[96:97], v46 offset:17152                     // 000000006DB0: D8EC4300 6000002E
	ds_read_b64 v[98:99], v46 offset:17408                     // 000000006DB8: D8EC4400 6200002E
	ds_read_b64 v[100:101], v46 offset:18176                   // 000000006DC0: D8EC4700 6400002E
	ds_read_b64 v[102:103], v46 offset:18432                   // 000000006DC8: D8EC4800 6600002E
	s_waitcnt lgkmcnt(0)                                       // 000000006DD0: BF8CC07F
	s_barrier                                                  // 000000006DD4: BF8A0000
	v_mov_b32_e32 v112, 0                                      // 000000006DD8: 7EE00280
	v_mov_b32_e32 v128, 0                                      // 000000006DDC: 7F000280
	v_mov_b32_e32 v113, 0                                      // 000000006DE0: 7EE20280
	v_mov_b32_e32 v129, 0                                      // 000000006DE4: 7F020280
	v_mov_b32_e32 v114, 0                                      // 000000006DE8: 7EE40280
	v_mov_b32_e32 v130, 0                                      // 000000006DEC: 7F040280
	v_mov_b32_e32 v115, 0                                      // 000000006DF0: 7EE60280
	v_mov_b32_e32 v131, 0                                      // 000000006DF4: 7F060280
	v_mov_b32_e32 v116, 0                                      // 000000006DF8: 7EE80280
	v_mov_b32_e32 v132, 0                                      // 000000006DFC: 7F080280
	v_mov_b32_e32 v117, 0                                      // 000000006E00: 7EEA0280
	v_mov_b32_e32 v133, 0                                      // 000000006E04: 7F0A0280
	v_mov_b32_e32 v118, 0                                      // 000000006E08: 7EEC0280
	v_mov_b32_e32 v134, 0                                      // 000000006E0C: 7F0C0280
	v_mov_b32_e32 v119, 0                                      // 000000006E10: 7EEE0280
	v_mov_b32_e32 v135, 0                                      // 000000006E14: 7F0E0280
	v_mov_b32_e32 v120, 0                                      // 000000006E18: 7EF00280
	v_mov_b32_e32 v136, 0                                      // 000000006E1C: 7F100280
	v_mov_b32_e32 v121, 0                                      // 000000006E20: 7EF20280
	v_mov_b32_e32 v137, 0                                      // 000000006E24: 7F120280
	v_mov_b32_e32 v122, 0                                      // 000000006E28: 7EF40280
	v_mov_b32_e32 v138, 0                                      // 000000006E2C: 7F140280
	v_mov_b32_e32 v123, 0                                      // 000000006E30: 7EF60280
	v_mov_b32_e32 v139, 0                                      // 000000006E34: 7F160280
	v_mov_b32_e32 v124, 0                                      // 000000006E38: 7EF80280
	v_mov_b32_e32 v140, 0                                      // 000000006E3C: 7F180280
	v_mov_b32_e32 v125, 0                                      // 000000006E40: 7EFA0280
	v_mov_b32_e32 v141, 0                                      // 000000006E44: 7F1A0280
	v_mov_b32_e32 v126, 0                                      // 000000006E48: 7EFC0280
	v_mov_b32_e32 v142, 0                                      // 000000006E4C: 7F1C0280
	v_mov_b32_e32 v127, 0                                      // 000000006E50: 7EFE0280
	v_mov_b32_e32 v143, 0                                      // 000000006E54: 7F1E0280
	ds_write_b64 v4, v[112:113] offset:17152                   // 000000006E58: D89A4300 00007004
	ds_write_b64 v4, v[114:115] offset:19328                   // 000000006E60: D89A4B80 00007204
	ds_write_b64 v4, v[116:117] offset:21504                   // 000000006E68: D89A5400 00007404
	ds_write_b64 v4, v[118:119] offset:23680                   // 000000006E70: D89A5C80 00007604
	s_mov_b32 s80, 0                                           // 000000006E78: BED00080

0000000000006e7c <label_101F>:
	s_waitcnt vmcnt(13) lgkmcnt(0)                             // 000000006E7C: BF8C007D
	s_barrier                                                  // 000000006E80: BF8A0000
	v_mfma_f32_16x16x128_f8f6f4 v[112:115], a[0:7], v[96:103], 0// 000000006E84: D3AD0070 0A02C100
	buffer_load_dword v23, v6, s[16:19], 0 offen               // 000000006E8C: E0501000 80041706
	buffer_load_dwordx4 a[64:67], v38, s[12:15], 0 offen       // 000000006E94: E05C1000 80834026
	buffer_load_dwordx4 a[68:71], v38, s[12:15], 0 offen offset:1024// 000000006E9C: E05C1400 80834426
	buffer_load_dwordx4 a[72:75], v39, s[12:15], 0 offen       // 000000006EA4: E05C1000 80834827
	buffer_load_dwordx4 a[76:79], v39, s[12:15], 0 offen offset:1024// 000000006EAC: E05C1400 80834C27
	v_mfma_f32_16x16x128_f8f6f4 v[116:119], a[8:15], v[96:103], 0// 000000006EB4: D3AD0074 0A02C108
	ds_read_b32 v64, v5 offset:17152                           // 000000006EBC: D86C4300 40000005
	ds_read_b32 v65, v5 offset:21504                           // 000000006EC4: D86C5400 41000005
	ds_read_b32 v66, v5 offset:17160                           // 000000006ECC: D86C4308 42000005
	ds_read_b32 v67, v5 offset:21512                           // 000000006ED4: D86C5408 43000005
	ds_read_b32 v68, v5 offset:17184                           // 000000006EDC: D86C4320 44000005
	ds_read_b32 v69, v5 offset:21536                           // 000000006EE4: D86C5420 45000005
	ds_read_b32 v70, v5 offset:17192                           // 000000006EEC: D86C4328 46000005
	ds_read_b32 v71, v5 offset:21544                           // 000000006EF4: D86C5428 47000005
	s_waitcnt vmcnt(13)                                        // 000000006EFC: BF8C0F7D
	v_mfma_f32_16x16x128_f8f6f4 v[120:123], a[16:23], v[96:103], 0// 000000006F00: D3AD0078 0A02C110
	buffer_load_dwordx4 a[80:83], v40, s[12:15], 0 offen       // 000000006F08: E05C1000 80835028
	buffer_load_dwordx4 a[84:87], v40, s[12:15], 0 offen offset:1024// 000000006F10: E05C1400 80835428
	buffer_load_dwordx4 a[88:91], v41, s[12:15], 0 offen       // 000000006F18: E05C1000 80835829
	buffer_load_dwordx4 a[92:95], v41, s[12:15], 0 offen offset:1024// 000000006F20: E05C1400 80835C29
	v_mfma_f32_16x16x128_f8f6f4 v[124:127], a[24:31], v[96:103], 0// 000000006F28: D3AD007C 0A02C118
	ds_write_b64 v4, v[128:129] offset:34560                   // 000000006F30: D89A8700 00008004
	ds_write_b64 v4, v[130:131] offset:36736                   // 000000006F38: D89A8F80 00008204
	ds_write_b64 v4, v[132:133] offset:38912                   // 000000006F40: D89A9800 00008404
	ds_write_b64 v4, v[134:135] offset:41088                   // 000000006F48: D89AA080 00008604
	v_mul_f32_dpp v46, v21, v32 row_newbcast:0 row_mask:0xf bank_mask:0xf// 000000006F50: 0A5C40FA FF015015
	v_mov_b32_e32 v47, v46                                     // 000000006F58: 7E5E032E
	v_pk_mul_f32 v[112:113], v[46:47], v[112:113]              // 000000006F5C: D3B14070 1802E12E
	v_pk_mul_f32 v[114:115], v[46:47], v[114:115]              // 000000006F64: D3B14072 1802E52E
	v_pk_mul_f32 v[116:117], v[46:47], v[116:117]              // 000000006F6C: D3B14074 1802E92E
	v_pk_mul_f32 v[118:119], v[46:47], v[118:119]              // 000000006F74: D3B14076 1802ED2E
	v_mul_f32_dpp v46, v21, v32 row_newbcast:1 row_mask:0xf bank_mask:0xf// 000000006F7C: 0A5C40FA FF015115
	v_mov_b32_e32 v47, v46                                     // 000000006F84: 7E5E032E
	v_pk_mul_f32 v[120:121], v[46:47], v[120:121]              // 000000006F88: D3B14078 1802F12E
	v_pk_mul_f32 v[122:123], v[46:47], v[122:123]              // 000000006F90: D3B1407A 1802F52E
	v_pk_mul_f32 v[124:125], v[46:47], v[124:125]              // 000000006F98: D3B1407C 1802F92E
	v_pk_mul_f32 v[126:127], v[46:47], v[126:127]              // 000000006FA0: D3B1407E 1802FD2E
	s_add_u32 s60, 0x300, s80                                  // 000000006FA8: 803C50FF 00000300
	s_cmp_lt_u32 s60, s81                                      // 000000006FB0: BF0A513C
	s_cselect_b32 s56, s56, 0                                  // 000000006FB4: 85388038
	s_cselect_b32 s78, s78, 0                                  // 000000006FB8: 854E804E
	s_cselect_b32 s79, s79, 0                                  // 000000006FBC: 854F804F
	s_add_u32 s12, s56, s12                                    // 000000006FC0: 800C0C38
	s_addc_u32 s13, 0, s13                                     // 000000006FC4: 820D0D80
	s_add_u32 s16, s79, s16                                    // 000000006FC8: 8010104F
	s_addc_u32 s17, 0, s17                                     // 000000006FCC: 82111180
	v_mov_b32_e32 v46, v27                                     // 000000006FD0: 7E5C031B
	v_mov_b32_e32 v47, v27                                     // 000000006FD4: 7E5E031B
	v_pk_mul_f32 v[112:113], v[46:47], v[112:113]              // 000000006FD8: D3B14070 1802E12E
	v_pk_mul_f32 v[114:115], v[46:47], v[114:115]              // 000000006FE0: D3B14072 1802E52E
	v_pk_mul_f32 v[116:117], v[46:47], v[116:117]              // 000000006FE8: D3B14074 1802E92E
	v_pk_mul_f32 v[118:119], v[46:47], v[118:119]              // 000000006FF0: D3B14076 1802ED2E
	v_pk_mul_f32 v[120:121], v[46:47], v[120:121]              // 000000006FF8: D3B14078 1802F12E
	v_pk_mul_f32 v[122:123], v[46:47], v[122:123]              // 000000007000: D3B1407A 1802F52E
	v_pk_mul_f32 v[124:125], v[46:47], v[124:125]              // 000000007008: D3B1407C 1802F92E
	v_pk_mul_f32 v[126:127], v[46:47], v[126:127]              // 000000007010: D3B1407E 1802FD2E
	v_cvt_pk_bf16_f32 v112, v112, v113                         // 000000007018: D2680070 0002E370
	v_cvt_pk_bf16_f32 v113, v114, v115                         // 000000007020: D2680071 0002E772
	v_cvt_pk_bf16_f32 v114, v116, v117                         // 000000007028: D2680072 0002EB74
	v_cvt_pk_bf16_f32 v115, v118, v119                         // 000000007030: D2680073 0002EF76
	v_cvt_pk_bf16_f32 v116, v120, v121                         // 000000007038: D2680074 0002F378
	v_cvt_pk_bf16_f32 v117, v122, v123                         // 000000007040: D2680075 0002F77A
	v_cvt_pk_bf16_f32 v118, v124, v125                         // 000000007048: D2680076 0002FB7C
	v_cvt_pk_bf16_f32 v119, v126, v127                         // 000000007050: D2680077 0002FF7E
	s_cmp_ge_u32 s80, 0x200                                    // 000000007058: BF09FF50 00000200
	s_cselect_b32 s59, 0x200, s59                              // 000000007060: 853B3BFF 00000200
	s_waitcnt lgkmcnt(0)                                       // 000000007068: BF8CC07F
	s_barrier                                                  // 00000000706C: BF8A0000
	s_setvskip s20, 0                                          // 000000007070: BF108014
	global_atomic_pk_add_bf16 v80, v64, s[8:9]                 // 000000007074: DD488000 00084050
	s_setvskip 0, 0                                            // 00000000707C: BF108080
	s_setvskip s20, 0                                          // 000000007080: BF108014
	global_atomic_pk_add_bf16 v80, v65, s[8:9] offset:256      // 000000007084: DD488100 00084150
	s_setvskip 0, 0                                            // 00000000708C: BF108080
	s_setvskip s20, 1                                          // 000000007090: BF108114
	global_atomic_pk_add_bf16 v82, v66, s[8:9]                 // 000000007094: DD488000 00084252
	s_setvskip 0, 0                                            // 00000000709C: BF108080
	s_setvskip s20, 1                                          // 0000000070A0: BF108114
	global_atomic_pk_add_bf16 v82, v67, s[8:9] offset:256      // 0000000070A4: DD488100 00084352
	s_setvskip 0, 0                                            // 0000000070AC: BF108080
	s_setvskip s20, 2                                          // 0000000070B0: BF108214
	global_atomic_pk_add_bf16 v84, v68, s[8:9]                 // 0000000070B4: DD488000 00084454
	s_setvskip 0, 0                                            // 0000000070BC: BF108080
	s_setvskip s20, 2                                          // 0000000070C0: BF108214
	global_atomic_pk_add_bf16 v84, v69, s[8:9] offset:256      // 0000000070C4: DD488100 00084554
	s_setvskip 0, 0                                            // 0000000070CC: BF108080
	s_setvskip s20, 3                                          // 0000000070D0: BF108314
	global_atomic_pk_add_bf16 v86, v70, s[8:9]                 // 0000000070D4: DD488000 00084656
	s_setvskip 0, 0                                            // 0000000070DC: BF108080
	s_setvskip s20, 3                                          // 0000000070E0: BF108314
	global_atomic_pk_add_bf16 v86, v71, s[8:9] offset:256      // 0000000070E4: DD488100 00084756
	s_setvskip 0, 0                                            // 0000000070EC: BF108080
	s_add_u32 s8, s59, s8                                      // 0000000070F0: 8008083B
	s_addc_u32 s9, 0, s9                                       // 0000000070F4: 82090980
	s_addk_i32 s80, 0x100                                      // 0000000070F8: B7500100
	s_cmp_lt_i32 s80, s81                                      // 0000000070FC: BF045150
	s_cbranch_scc0 label_0B8D                                  // 000000007100: BF84FACC
	s_waitcnt vmcnt(13) lgkmcnt(0)                             // 000000007104: BF8C007D
	s_barrier                                                  // 000000007108: BF8A0000
	v_mfma_f32_16x16x128_f8f6f4 v[128:131], a[32:39], v[96:103], 0// 00000000710C: D3AD0080 0A02C120
	buffer_load_dword v21, v6, s[16:19], 0 offen               // 000000007114: E0501000 80041506
	buffer_load_dwordx4 a[0:3], v38, s[12:15], 0 offen         // 00000000711C: E05C1000 80830026
	buffer_load_dwordx4 a[4:7], v38, s[12:15], 0 offen offset:1024// 000000007124: E05C1400 80830426
	buffer_load_dwordx4 a[8:11], v39, s[12:15], 0 offen        // 00000000712C: E05C1000 80830827
	buffer_load_dwordx4 a[12:15], v39, s[12:15], 0 offen offset:1024// 000000007134: E05C1400 80830C27
	v_mfma_f32_16x16x128_f8f6f4 v[132:135], a[40:47], v[96:103], 0// 00000000713C: D3AD0084 0A02C128
	ds_read_b32 v64, v5 offset:34560                           // 000000007144: D86C8700 40000005
	ds_read_b32 v65, v5 offset:38912                           // 00000000714C: D86C9800 41000005
	ds_read_b32 v66, v5 offset:34568                           // 000000007154: D86C8708 42000005
	ds_read_b32 v67, v5 offset:38920                           // 00000000715C: D86C9808 43000005
	ds_read_b32 v68, v5 offset:34592                           // 000000007164: D86C8720 44000005
	ds_read_b32 v69, v5 offset:38944                           // 00000000716C: D86C9820 45000005
	ds_read_b32 v70, v5 offset:34600                           // 000000007174: D86C8728 46000005
	ds_read_b32 v71, v5 offset:38952                           // 00000000717C: D86C9828 47000005
	s_waitcnt vmcnt(13)                                        // 000000007184: BF8C0F7D
	v_mfma_f32_16x16x128_f8f6f4 v[136:139], a[48:55], v[96:103], 0// 000000007188: D3AD0088 0A02C130
	buffer_load_dwordx4 a[16:19], v40, s[12:15], 0 offen       // 000000007190: E05C1000 80831028
	buffer_load_dwordx4 a[20:23], v40, s[12:15], 0 offen offset:1024// 000000007198: E05C1400 80831428
	buffer_load_dwordx4 a[24:27], v41, s[12:15], 0 offen       // 0000000071A0: E05C1000 80831829
	buffer_load_dwordx4 a[28:31], v41, s[12:15], 0 offen offset:1024// 0000000071A8: E05C1400 80831C29
	v_mfma_f32_16x16x128_f8f6f4 v[140:143], a[56:63], v[96:103], 0// 0000000071B0: D3AD008C 0A02C138
	ds_write_b64 v4, v[112:113] offset:17152                   // 0000000071B8: D89A4300 00007004
	ds_write_b64 v4, v[114:115] offset:19328                   // 0000000071C0: D89A4B80 00007204
	ds_write_b64 v4, v[116:117] offset:21504                   // 0000000071C8: D89A5400 00007404
	ds_write_b64 v4, v[118:119] offset:23680                   // 0000000071D0: D89A5C80 00007604
	v_mul_f32_dpp v46, v22, v32 row_newbcast:0 row_mask:0xf bank_mask:0xf// 0000000071D8: 0A5C40FA FF015016
	v_mov_b32_e32 v47, v46                                     // 0000000071E0: 7E5E032E
	v_pk_mul_f32 v[128:129], v[46:47], v[128:129]              // 0000000071E4: D3B14080 1803012E
	v_pk_mul_f32 v[130:131], v[46:47], v[130:131]              // 0000000071EC: D3B14082 1803052E
	v_pk_mul_f32 v[132:133], v[46:47], v[132:133]              // 0000000071F4: D3B14084 1803092E
	v_pk_mul_f32 v[134:135], v[46:47], v[134:135]              // 0000000071FC: D3B14086 18030D2E
	v_mul_f32_dpp v46, v22, v32 row_newbcast:1 row_mask:0xf bank_mask:0xf// 000000007204: 0A5C40FA FF015116
	v_mov_b32_e32 v47, v46                                     // 00000000720C: 7E5E032E
	v_pk_mul_f32 v[136:137], v[46:47], v[136:137]              // 000000007210: D3B14088 1803112E
	v_pk_mul_f32 v[138:139], v[46:47], v[138:139]              // 000000007218: D3B1408A 1803152E
	v_pk_mul_f32 v[140:141], v[46:47], v[140:141]              // 000000007220: D3B1408C 1803192E
	v_pk_mul_f32 v[142:143], v[46:47], v[142:143]              // 000000007228: D3B1408E 18031D2E
	s_add_u32 s60, 0x300, s80                                  // 000000007230: 803C50FF 00000300
	s_cmp_lt_u32 s60, s81                                      // 000000007238: BF0A513C
	s_cselect_b32 s56, s56, 0                                  // 00000000723C: 85388038
	s_cselect_b32 s78, s78, 0                                  // 000000007240: 854E804E
	s_cselect_b32 s79, s79, 0                                  // 000000007244: 854F804F
	s_add_u32 s12, s56, s12                                    // 000000007248: 800C0C38
	s_addc_u32 s13, 0, s13                                     // 00000000724C: 820D0D80
	s_add_u32 s16, s79, s16                                    // 000000007250: 8010104F
	s_addc_u32 s17, 0, s17                                     // 000000007254: 82111180
	v_mov_b32_e32 v46, v27                                     // 000000007258: 7E5C031B
	v_mov_b32_e32 v47, v27                                     // 00000000725C: 7E5E031B
	v_pk_mul_f32 v[128:129], v[46:47], v[128:129]              // 000000007260: D3B14080 1803012E
	v_pk_mul_f32 v[130:131], v[46:47], v[130:131]              // 000000007268: D3B14082 1803052E
	v_pk_mul_f32 v[132:133], v[46:47], v[132:133]              // 000000007270: D3B14084 1803092E
	v_pk_mul_f32 v[134:135], v[46:47], v[134:135]              // 000000007278: D3B14086 18030D2E
	v_pk_mul_f32 v[136:137], v[46:47], v[136:137]              // 000000007280: D3B14088 1803112E
	v_pk_mul_f32 v[138:139], v[46:47], v[138:139]              // 000000007288: D3B1408A 1803152E
	v_pk_mul_f32 v[140:141], v[46:47], v[140:141]              // 000000007290: D3B1408C 1803192E
	v_pk_mul_f32 v[142:143], v[46:47], v[142:143]              // 000000007298: D3B1408E 18031D2E
	v_cvt_pk_bf16_f32 v128, v128, v129                         // 0000000072A0: D2680080 00030380
	v_cvt_pk_bf16_f32 v129, v130, v131                         // 0000000072A8: D2680081 00030782
	v_cvt_pk_bf16_f32 v130, v132, v133                         // 0000000072B0: D2680082 00030B84
	v_cvt_pk_bf16_f32 v131, v134, v135                         // 0000000072B8: D2680083 00030F86
	v_cvt_pk_bf16_f32 v132, v136, v137                         // 0000000072C0: D2680084 00031388
	v_cvt_pk_bf16_f32 v133, v138, v139                         // 0000000072C8: D2680085 0003178A
	v_cvt_pk_bf16_f32 v134, v140, v141                         // 0000000072D0: D2680086 00031B8C
	v_cvt_pk_bf16_f32 v135, v142, v143                         // 0000000072D8: D2680087 00031F8E
	s_cmp_ge_u32 s80, 0x200                                    // 0000000072E0: BF09FF50 00000200
	s_cselect_b32 s59, 0x200, s59                              // 0000000072E8: 853B3BFF 00000200
	s_waitcnt lgkmcnt(0)                                       // 0000000072F0: BF8CC07F
	s_barrier                                                  // 0000000072F4: BF8A0000
	s_setvskip s20, 0                                          // 0000000072F8: BF108014
	global_atomic_pk_add_bf16 v80, v64, s[8:9]                 // 0000000072FC: DD488000 00084050
	s_setvskip 0, 0                                            // 000000007304: BF108080
	s_setvskip s20, 0                                          // 000000007308: BF108014
	global_atomic_pk_add_bf16 v80, v65, s[8:9] offset:256      // 00000000730C: DD488100 00084150
	s_setvskip 0, 0                                            // 000000007314: BF108080
	s_setvskip s20, 1                                          // 000000007318: BF108114
	global_atomic_pk_add_bf16 v82, v66, s[8:9]                 // 00000000731C: DD488000 00084252
	s_setvskip 0, 0                                            // 000000007324: BF108080
	s_setvskip s20, 1                                          // 000000007328: BF108114
	global_atomic_pk_add_bf16 v82, v67, s[8:9] offset:256      // 00000000732C: DD488100 00084352
	s_setvskip 0, 0                                            // 000000007334: BF108080
	s_setvskip s20, 2                                          // 000000007338: BF108214
	global_atomic_pk_add_bf16 v84, v68, s[8:9]                 // 00000000733C: DD488000 00084454
	s_setvskip 0, 0                                            // 000000007344: BF108080
	s_setvskip s20, 2                                          // 000000007348: BF108214
	global_atomic_pk_add_bf16 v84, v69, s[8:9] offset:256      // 00000000734C: DD488100 00084554
	s_setvskip 0, 0                                            // 000000007354: BF108080
	s_setvskip s20, 3                                          // 000000007358: BF108314
	global_atomic_pk_add_bf16 v86, v70, s[8:9]                 // 00000000735C: DD488000 00084656
	s_setvskip 0, 0                                            // 000000007364: BF108080
	s_setvskip s20, 3                                          // 000000007368: BF108314
	global_atomic_pk_add_bf16 v86, v71, s[8:9] offset:256      // 00000000736C: DD488100 00084756
	s_setvskip 0, 0                                            // 000000007374: BF108080
	s_add_u32 s8, s59, s8                                      // 000000007378: 8008083B
	s_addc_u32 s9, 0, s9                                       // 00000000737C: 82090980
	s_addk_i32 s80, 0x100                                      // 000000007380: B7500100
	s_cmp_lt_i32 s80, s81                                      // 000000007384: BF045150
	s_cbranch_scc0 label_0B8D                                  // 000000007388: BF84FA2A
	s_waitcnt vmcnt(13) lgkmcnt(0)                             // 00000000738C: BF8C007D
	s_barrier                                                  // 000000007390: BF8A0000
	v_mfma_f32_16x16x128_f8f6f4 v[112:115], a[64:71], v[96:103], 0// 000000007394: D3AD0070 0A02C140
	buffer_load_dword v22, v6, s[16:19], 0 offen               // 00000000739C: E0501000 80041606
	buffer_load_dwordx4 a[32:35], v38, s[12:15], 0 offen       // 0000000073A4: E05C1000 80832026
	buffer_load_dwordx4 a[36:39], v38, s[12:15], 0 offen offset:1024// 0000000073AC: E05C1400 80832426
	buffer_load_dwordx4 a[40:43], v39, s[12:15], 0 offen       // 0000000073B4: E05C1000 80832827
	buffer_load_dwordx4 a[44:47], v39, s[12:15], 0 offen offset:1024// 0000000073BC: E05C1400 80832C27
	v_mfma_f32_16x16x128_f8f6f4 v[116:119], a[72:79], v[96:103], 0// 0000000073C4: D3AD0074 0A02C148
	ds_read_b32 v64, v5 offset:17152                           // 0000000073CC: D86C4300 40000005
	ds_read_b32 v65, v5 offset:21504                           // 0000000073D4: D86C5400 41000005
	ds_read_b32 v66, v5 offset:17160                           // 0000000073DC: D86C4308 42000005
	ds_read_b32 v67, v5 offset:21512                           // 0000000073E4: D86C5408 43000005
	ds_read_b32 v68, v5 offset:17184                           // 0000000073EC: D86C4320 44000005
	ds_read_b32 v69, v5 offset:21536                           // 0000000073F4: D86C5420 45000005
	ds_read_b32 v70, v5 offset:17192                           // 0000000073FC: D86C4328 46000005
	ds_read_b32 v71, v5 offset:21544                           // 000000007404: D86C5428 47000005
	s_waitcnt vmcnt(13)                                        // 00000000740C: BF8C0F7D
	v_mfma_f32_16x16x128_f8f6f4 v[120:123], a[80:87], v[96:103], 0// 000000007410: D3AD0078 0A02C150
	buffer_load_dwordx4 a[48:51], v40, s[12:15], 0 offen       // 000000007418: E05C1000 80833028
	buffer_load_dwordx4 a[52:55], v40, s[12:15], 0 offen offset:1024// 000000007420: E05C1400 80833428
	buffer_load_dwordx4 a[56:59], v41, s[12:15], 0 offen       // 000000007428: E05C1000 80833829
	buffer_load_dwordx4 a[60:63], v41, s[12:15], 0 offen offset:1024// 000000007430: E05C1400 80833C29
	v_mfma_f32_16x16x128_f8f6f4 v[124:127], a[88:95], v[96:103], 0// 000000007438: D3AD007C 0A02C158
	ds_write_b64 v4, v[128:129] offset:34560                   // 000000007440: D89A8700 00008004
	ds_write_b64 v4, v[130:131] offset:36736                   // 000000007448: D89A8F80 00008204
	ds_write_b64 v4, v[132:133] offset:38912                   // 000000007450: D89A9800 00008404
	ds_write_b64 v4, v[134:135] offset:41088                   // 000000007458: D89AA080 00008604
	v_mul_f32_dpp v46, v23, v32 row_newbcast:0 row_mask:0xf bank_mask:0xf// 000000007460: 0A5C40FA FF015017
	v_mov_b32_e32 v47, v46                                     // 000000007468: 7E5E032E
	v_pk_mul_f32 v[112:113], v[46:47], v[112:113]              // 00000000746C: D3B14070 1802E12E
	v_pk_mul_f32 v[114:115], v[46:47], v[114:115]              // 000000007474: D3B14072 1802E52E
	v_pk_mul_f32 v[116:117], v[46:47], v[116:117]              // 00000000747C: D3B14074 1802E92E
	v_pk_mul_f32 v[118:119], v[46:47], v[118:119]              // 000000007484: D3B14076 1802ED2E
	v_mul_f32_dpp v46, v23, v32 row_newbcast:1 row_mask:0xf bank_mask:0xf// 00000000748C: 0A5C40FA FF015117
	v_mov_b32_e32 v47, v46                                     // 000000007494: 7E5E032E
	v_pk_mul_f32 v[120:121], v[46:47], v[120:121]              // 000000007498: D3B14078 1802F12E
	v_pk_mul_f32 v[122:123], v[46:47], v[122:123]              // 0000000074A0: D3B1407A 1802F52E
	v_pk_mul_f32 v[124:125], v[46:47], v[124:125]              // 0000000074A8: D3B1407C 1802F92E
	v_pk_mul_f32 v[126:127], v[46:47], v[126:127]              // 0000000074B0: D3B1407E 1802FD2E
	s_add_u32 s60, 0x300, s80                                  // 0000000074B8: 803C50FF 00000300
	s_cmp_lt_u32 s60, s81                                      // 0000000074C0: BF0A513C
	s_cselect_b32 s56, s56, 0                                  // 0000000074C4: 85388038
	s_cselect_b32 s78, s78, 0                                  // 0000000074C8: 854E804E
	s_cselect_b32 s79, s79, 0                                  // 0000000074CC: 854F804F
	s_add_u32 s12, s56, s12                                    // 0000000074D0: 800C0C38
	s_addc_u32 s13, 0, s13                                     // 0000000074D4: 820D0D80
	s_add_u32 s16, s79, s16                                    // 0000000074D8: 8010104F
	s_addc_u32 s17, 0, s17                                     // 0000000074DC: 82111180
	v_mov_b32_e32 v46, v27                                     // 0000000074E0: 7E5C031B
	v_mov_b32_e32 v47, v27                                     // 0000000074E4: 7E5E031B
	v_pk_mul_f32 v[112:113], v[46:47], v[112:113]              // 0000000074E8: D3B14070 1802E12E
	v_pk_mul_f32 v[114:115], v[46:47], v[114:115]              // 0000000074F0: D3B14072 1802E52E
	v_pk_mul_f32 v[116:117], v[46:47], v[116:117]              // 0000000074F8: D3B14074 1802E92E
	v_pk_mul_f32 v[118:119], v[46:47], v[118:119]              // 000000007500: D3B14076 1802ED2E
	v_pk_mul_f32 v[120:121], v[46:47], v[120:121]              // 000000007508: D3B14078 1802F12E
	v_pk_mul_f32 v[122:123], v[46:47], v[122:123]              // 000000007510: D3B1407A 1802F52E
	v_pk_mul_f32 v[124:125], v[46:47], v[124:125]              // 000000007518: D3B1407C 1802F92E
	v_pk_mul_f32 v[126:127], v[46:47], v[126:127]              // 000000007520: D3B1407E 1802FD2E
	v_cvt_pk_bf16_f32 v112, v112, v113                         // 000000007528: D2680070 0002E370
	v_cvt_pk_bf16_f32 v113, v114, v115                         // 000000007530: D2680071 0002E772
	v_cvt_pk_bf16_f32 v114, v116, v117                         // 000000007538: D2680072 0002EB74
	v_cvt_pk_bf16_f32 v115, v118, v119                         // 000000007540: D2680073 0002EF76
	v_cvt_pk_bf16_f32 v116, v120, v121                         // 000000007548: D2680074 0002F378
	v_cvt_pk_bf16_f32 v117, v122, v123                         // 000000007550: D2680075 0002F77A
	v_cvt_pk_bf16_f32 v118, v124, v125                         // 000000007558: D2680076 0002FB7C
	v_cvt_pk_bf16_f32 v119, v126, v127                         // 000000007560: D2680077 0002FF7E
	s_cmp_ge_u32 s80, 0x200                                    // 000000007568: BF09FF50 00000200
	s_cselect_b32 s59, 0x200, s59                              // 000000007570: 853B3BFF 00000200
	s_waitcnt lgkmcnt(0)                                       // 000000007578: BF8CC07F
	s_barrier                                                  // 00000000757C: BF8A0000
	s_setvskip s20, 0                                          // 000000007580: BF108014
	global_atomic_pk_add_bf16 v80, v64, s[8:9]                 // 000000007584: DD488000 00084050
	s_setvskip 0, 0                                            // 00000000758C: BF108080
	s_setvskip s20, 0                                          // 000000007590: BF108014
	global_atomic_pk_add_bf16 v80, v65, s[8:9] offset:256      // 000000007594: DD488100 00084150
	s_setvskip 0, 0                                            // 00000000759C: BF108080
	s_setvskip s20, 1                                          // 0000000075A0: BF108114
	global_atomic_pk_add_bf16 v82, v66, s[8:9]                 // 0000000075A4: DD488000 00084252
	s_setvskip 0, 0                                            // 0000000075AC: BF108080
	s_setvskip s20, 1                                          // 0000000075B0: BF108114
	global_atomic_pk_add_bf16 v82, v67, s[8:9] offset:256      // 0000000075B4: DD488100 00084352
	s_setvskip 0, 0                                            // 0000000075BC: BF108080
	s_setvskip s20, 2                                          // 0000000075C0: BF108214
	global_atomic_pk_add_bf16 v84, v68, s[8:9]                 // 0000000075C4: DD488000 00084454
	s_setvskip 0, 0                                            // 0000000075CC: BF108080
	s_setvskip s20, 2                                          // 0000000075D0: BF108214
	global_atomic_pk_add_bf16 v84, v69, s[8:9] offset:256      // 0000000075D4: DD488100 00084554
	s_setvskip 0, 0                                            // 0000000075DC: BF108080
	s_setvskip s20, 3                                          // 0000000075E0: BF108314
	global_atomic_pk_add_bf16 v86, v70, s[8:9]                 // 0000000075E4: DD488000 00084656
	s_setvskip 0, 0                                            // 0000000075EC: BF108080
	s_setvskip s20, 3                                          // 0000000075F0: BF108314
	global_atomic_pk_add_bf16 v86, v71, s[8:9] offset:256      // 0000000075F4: DD488100 00084756
	s_setvskip 0, 0                                            // 0000000075FC: BF108080
	s_add_u32 s8, s59, s8                                      // 000000007600: 8008083B
	s_addc_u32 s9, 0, s9                                       // 000000007604: 82090980
	s_addk_i32 s80, 0x100                                      // 000000007608: B7500100
	s_cmp_lt_i32 s80, s81                                      // 00000000760C: BF045150
	s_cbranch_scc0 label_0B8D                                  // 000000007610: BF84F988
	s_waitcnt vmcnt(13) lgkmcnt(0)                             // 000000007614: BF8C007D
	s_barrier                                                  // 000000007618: BF8A0000
	v_mfma_f32_16x16x128_f8f6f4 v[128:131], a[0:7], v[96:103], 0// 00000000761C: D3AD0080 0A02C100
	buffer_load_dword v23, v6, s[16:19], 0 offen               // 000000007624: E0501000 80041706
	buffer_load_dwordx4 a[64:67], v38, s[12:15], 0 offen       // 00000000762C: E05C1000 80834026
	buffer_load_dwordx4 a[68:71], v38, s[12:15], 0 offen offset:1024// 000000007634: E05C1400 80834426
	buffer_load_dwordx4 a[72:75], v39, s[12:15], 0 offen       // 00000000763C: E05C1000 80834827
	buffer_load_dwordx4 a[76:79], v39, s[12:15], 0 offen offset:1024// 000000007644: E05C1400 80834C27
	v_mfma_f32_16x16x128_f8f6f4 v[132:135], a[8:15], v[96:103], 0// 00000000764C: D3AD0084 0A02C108
	ds_read_b32 v64, v5 offset:34560                           // 000000007654: D86C8700 40000005
	ds_read_b32 v65, v5 offset:38912                           // 00000000765C: D86C9800 41000005
	ds_read_b32 v66, v5 offset:34568                           // 000000007664: D86C8708 42000005
	ds_read_b32 v67, v5 offset:38920                           // 00000000766C: D86C9808 43000005
	ds_read_b32 v68, v5 offset:34592                           // 000000007674: D86C8720 44000005
	ds_read_b32 v69, v5 offset:38944                           // 00000000767C: D86C9820 45000005
	ds_read_b32 v70, v5 offset:34600                           // 000000007684: D86C8728 46000005
	ds_read_b32 v71, v5 offset:38952                           // 00000000768C: D86C9828 47000005
	s_waitcnt vmcnt(13)                                        // 000000007694: BF8C0F7D
	v_mfma_f32_16x16x128_f8f6f4 v[136:139], a[16:23], v[96:103], 0// 000000007698: D3AD0088 0A02C110
	buffer_load_dwordx4 a[80:83], v40, s[12:15], 0 offen       // 0000000076A0: E05C1000 80835028
	buffer_load_dwordx4 a[84:87], v40, s[12:15], 0 offen offset:1024// 0000000076A8: E05C1400 80835428
	buffer_load_dwordx4 a[88:91], v41, s[12:15], 0 offen       // 0000000076B0: E05C1000 80835829
	buffer_load_dwordx4 a[92:95], v41, s[12:15], 0 offen offset:1024// 0000000076B8: E05C1400 80835C29
	v_mfma_f32_16x16x128_f8f6f4 v[140:143], a[24:31], v[96:103], 0// 0000000076C0: D3AD008C 0A02C118
	ds_write_b64 v4, v[112:113] offset:17152                   // 0000000076C8: D89A4300 00007004
	ds_write_b64 v4, v[114:115] offset:19328                   // 0000000076D0: D89A4B80 00007204
	ds_write_b64 v4, v[116:117] offset:21504                   // 0000000076D8: D89A5400 00007404
	ds_write_b64 v4, v[118:119] offset:23680                   // 0000000076E0: D89A5C80 00007604
	v_mul_f32_dpp v46, v21, v32 row_newbcast:0 row_mask:0xf bank_mask:0xf// 0000000076E8: 0A5C40FA FF015015
	v_mov_b32_e32 v47, v46                                     // 0000000076F0: 7E5E032E
	v_pk_mul_f32 v[128:129], v[46:47], v[128:129]              // 0000000076F4: D3B14080 1803012E
	v_pk_mul_f32 v[130:131], v[46:47], v[130:131]              // 0000000076FC: D3B14082 1803052E
	v_pk_mul_f32 v[132:133], v[46:47], v[132:133]              // 000000007704: D3B14084 1803092E
	v_pk_mul_f32 v[134:135], v[46:47], v[134:135]              // 00000000770C: D3B14086 18030D2E
	v_mul_f32_dpp v46, v21, v32 row_newbcast:1 row_mask:0xf bank_mask:0xf// 000000007714: 0A5C40FA FF015115
	v_mov_b32_e32 v47, v46                                     // 00000000771C: 7E5E032E
	v_pk_mul_f32 v[136:137], v[46:47], v[136:137]              // 000000007720: D3B14088 1803112E
	v_pk_mul_f32 v[138:139], v[46:47], v[138:139]              // 000000007728: D3B1408A 1803152E
	v_pk_mul_f32 v[140:141], v[46:47], v[140:141]              // 000000007730: D3B1408C 1803192E
	v_pk_mul_f32 v[142:143], v[46:47], v[142:143]              // 000000007738: D3B1408E 18031D2E
	s_add_u32 s60, 0x300, s80                                  // 000000007740: 803C50FF 00000300
	s_cmp_lt_u32 s60, s81                                      // 000000007748: BF0A513C
	s_cselect_b32 s56, s56, 0                                  // 00000000774C: 85388038
	s_cselect_b32 s78, s78, 0                                  // 000000007750: 854E804E
	s_cselect_b32 s79, s79, 0                                  // 000000007754: 854F804F
	s_add_u32 s12, s56, s12                                    // 000000007758: 800C0C38
	s_addc_u32 s13, 0, s13                                     // 00000000775C: 820D0D80
	s_add_u32 s16, s79, s16                                    // 000000007760: 8010104F
	s_addc_u32 s17, 0, s17                                     // 000000007764: 82111180
	v_mov_b32_e32 v46, v27                                     // 000000007768: 7E5C031B
	v_mov_b32_e32 v47, v27                                     // 00000000776C: 7E5E031B
	v_pk_mul_f32 v[128:129], v[46:47], v[128:129]              // 000000007770: D3B14080 1803012E
	v_pk_mul_f32 v[130:131], v[46:47], v[130:131]              // 000000007778: D3B14082 1803052E
	v_pk_mul_f32 v[132:133], v[46:47], v[132:133]              // 000000007780: D3B14084 1803092E
	v_pk_mul_f32 v[134:135], v[46:47], v[134:135]              // 000000007788: D3B14086 18030D2E
	v_pk_mul_f32 v[136:137], v[46:47], v[136:137]              // 000000007790: D3B14088 1803112E
	v_pk_mul_f32 v[138:139], v[46:47], v[138:139]              // 000000007798: D3B1408A 1803152E
	v_pk_mul_f32 v[140:141], v[46:47], v[140:141]              // 0000000077A0: D3B1408C 1803192E
	v_pk_mul_f32 v[142:143], v[46:47], v[142:143]              // 0000000077A8: D3B1408E 18031D2E
	v_cvt_pk_bf16_f32 v128, v128, v129                         // 0000000077B0: D2680080 00030380
	v_cvt_pk_bf16_f32 v129, v130, v131                         // 0000000077B8: D2680081 00030782
	v_cvt_pk_bf16_f32 v130, v132, v133                         // 0000000077C0: D2680082 00030B84
	v_cvt_pk_bf16_f32 v131, v134, v135                         // 0000000077C8: D2680083 00030F86
	v_cvt_pk_bf16_f32 v132, v136, v137                         // 0000000077D0: D2680084 00031388
	v_cvt_pk_bf16_f32 v133, v138, v139                         // 0000000077D8: D2680085 0003178A
	v_cvt_pk_bf16_f32 v134, v140, v141                         // 0000000077E0: D2680086 00031B8C
	v_cvt_pk_bf16_f32 v135, v142, v143                         // 0000000077E8: D2680087 00031F8E
	s_cmp_ge_u32 s80, 0x200                                    // 0000000077F0: BF09FF50 00000200
	s_cselect_b32 s59, 0x200, s59                              // 0000000077F8: 853B3BFF 00000200
	s_waitcnt lgkmcnt(0)                                       // 000000007800: BF8CC07F
	s_barrier                                                  // 000000007804: BF8A0000
	s_setvskip s20, 0                                          // 000000007808: BF108014
	global_atomic_pk_add_bf16 v80, v64, s[8:9]                 // 00000000780C: DD488000 00084050
	s_setvskip 0, 0                                            // 000000007814: BF108080
	s_setvskip s20, 0                                          // 000000007818: BF108014
	global_atomic_pk_add_bf16 v80, v65, s[8:9] offset:256      // 00000000781C: DD488100 00084150
	s_setvskip 0, 0                                            // 000000007824: BF108080
	s_setvskip s20, 1                                          // 000000007828: BF108114
	global_atomic_pk_add_bf16 v82, v66, s[8:9]                 // 00000000782C: DD488000 00084252
	s_setvskip 0, 0                                            // 000000007834: BF108080
	s_setvskip s20, 1                                          // 000000007838: BF108114
	global_atomic_pk_add_bf16 v82, v67, s[8:9] offset:256      // 00000000783C: DD488100 00084352
	s_setvskip 0, 0                                            // 000000007844: BF108080
	s_setvskip s20, 2                                          // 000000007848: BF108214
	global_atomic_pk_add_bf16 v84, v68, s[8:9]                 // 00000000784C: DD488000 00084454
	s_setvskip 0, 0                                            // 000000007854: BF108080
	s_setvskip s20, 2                                          // 000000007858: BF108214
	global_atomic_pk_add_bf16 v84, v69, s[8:9] offset:256      // 00000000785C: DD488100 00084554
	s_setvskip 0, 0                                            // 000000007864: BF108080
	s_setvskip s20, 3                                          // 000000007868: BF108314
	global_atomic_pk_add_bf16 v86, v70, s[8:9]                 // 00000000786C: DD488000 00084656
	s_setvskip 0, 0                                            // 000000007874: BF108080
	s_setvskip s20, 3                                          // 000000007878: BF108314
	global_atomic_pk_add_bf16 v86, v71, s[8:9] offset:256      // 00000000787C: DD488100 00084756
	s_setvskip 0, 0                                            // 000000007884: BF108080
	s_add_u32 s8, s59, s8                                      // 000000007888: 8008083B
	s_addc_u32 s9, 0, s9                                       // 00000000788C: 82090980
	s_addk_i32 s80, 0x100                                      // 000000007890: B7500100
	s_cmp_lt_i32 s80, s81                                      // 000000007894: BF045150
	s_cbranch_scc0 label_0B8D                                  // 000000007898: BF84F8E6
	s_waitcnt vmcnt(13) lgkmcnt(0)                             // 00000000789C: BF8C007D
	s_barrier                                                  // 0000000078A0: BF8A0000
	v_mfma_f32_16x16x128_f8f6f4 v[112:115], a[32:39], v[96:103], 0// 0000000078A4: D3AD0070 0A02C120
	buffer_load_dword v21, v6, s[16:19], 0 offen               // 0000000078AC: E0501000 80041506
	buffer_load_dwordx4 a[0:3], v38, s[12:15], 0 offen         // 0000000078B4: E05C1000 80830026
	buffer_load_dwordx4 a[4:7], v38, s[12:15], 0 offen offset:1024// 0000000078BC: E05C1400 80830426
	buffer_load_dwordx4 a[8:11], v39, s[12:15], 0 offen        // 0000000078C4: E05C1000 80830827
	buffer_load_dwordx4 a[12:15], v39, s[12:15], 0 offen offset:1024// 0000000078CC: E05C1400 80830C27
	v_mfma_f32_16x16x128_f8f6f4 v[116:119], a[40:47], v[96:103], 0// 0000000078D4: D3AD0074 0A02C128
	ds_read_b32 v64, v5 offset:17152                           // 0000000078DC: D86C4300 40000005
	ds_read_b32 v65, v5 offset:21504                           // 0000000078E4: D86C5400 41000005
	ds_read_b32 v66, v5 offset:17160                           // 0000000078EC: D86C4308 42000005
	ds_read_b32 v67, v5 offset:21512                           // 0000000078F4: D86C5408 43000005
	ds_read_b32 v68, v5 offset:17184                           // 0000000078FC: D86C4320 44000005
	ds_read_b32 v69, v5 offset:21536                           // 000000007904: D86C5420 45000005
	ds_read_b32 v70, v5 offset:17192                           // 00000000790C: D86C4328 46000005
	ds_read_b32 v71, v5 offset:21544                           // 000000007914: D86C5428 47000005
	s_waitcnt vmcnt(13)                                        // 00000000791C: BF8C0F7D
	v_mfma_f32_16x16x128_f8f6f4 v[120:123], a[48:55], v[96:103], 0// 000000007920: D3AD0078 0A02C130
	buffer_load_dwordx4 a[16:19], v40, s[12:15], 0 offen       // 000000007928: E05C1000 80831028
	buffer_load_dwordx4 a[20:23], v40, s[12:15], 0 offen offset:1024// 000000007930: E05C1400 80831428
	buffer_load_dwordx4 a[24:27], v41, s[12:15], 0 offen       // 000000007938: E05C1000 80831829
	buffer_load_dwordx4 a[28:31], v41, s[12:15], 0 offen offset:1024// 000000007940: E05C1400 80831C29
	v_mfma_f32_16x16x128_f8f6f4 v[124:127], a[56:63], v[96:103], 0// 000000007948: D3AD007C 0A02C138
	ds_write_b64 v4, v[128:129] offset:34560                   // 000000007950: D89A8700 00008004
	ds_write_b64 v4, v[130:131] offset:36736                   // 000000007958: D89A8F80 00008204
	ds_write_b64 v4, v[132:133] offset:38912                   // 000000007960: D89A9800 00008404
	ds_write_b64 v4, v[134:135] offset:41088                   // 000000007968: D89AA080 00008604
	v_mul_f32_dpp v46, v22, v32 row_newbcast:0 row_mask:0xf bank_mask:0xf// 000000007970: 0A5C40FA FF015016
	v_mov_b32_e32 v47, v46                                     // 000000007978: 7E5E032E
	v_pk_mul_f32 v[112:113], v[46:47], v[112:113]              // 00000000797C: D3B14070 1802E12E
	v_pk_mul_f32 v[114:115], v[46:47], v[114:115]              // 000000007984: D3B14072 1802E52E
	v_pk_mul_f32 v[116:117], v[46:47], v[116:117]              // 00000000798C: D3B14074 1802E92E
	v_pk_mul_f32 v[118:119], v[46:47], v[118:119]              // 000000007994: D3B14076 1802ED2E
	v_mul_f32_dpp v46, v22, v32 row_newbcast:1 row_mask:0xf bank_mask:0xf// 00000000799C: 0A5C40FA FF015116
	v_mov_b32_e32 v47, v46                                     // 0000000079A4: 7E5E032E
	v_pk_mul_f32 v[120:121], v[46:47], v[120:121]              // 0000000079A8: D3B14078 1802F12E
	v_pk_mul_f32 v[122:123], v[46:47], v[122:123]              // 0000000079B0: D3B1407A 1802F52E
	v_pk_mul_f32 v[124:125], v[46:47], v[124:125]              // 0000000079B8: D3B1407C 1802F92E
	v_pk_mul_f32 v[126:127], v[46:47], v[126:127]              // 0000000079C0: D3B1407E 1802FD2E
	s_add_u32 s60, 0x300, s80                                  // 0000000079C8: 803C50FF 00000300
	s_cmp_lt_u32 s60, s81                                      // 0000000079D0: BF0A513C
	s_cselect_b32 s56, s56, 0                                  // 0000000079D4: 85388038
	s_cselect_b32 s78, s78, 0                                  // 0000000079D8: 854E804E
	s_cselect_b32 s79, s79, 0                                  // 0000000079DC: 854F804F
	s_add_u32 s12, s56, s12                                    // 0000000079E0: 800C0C38
	s_addc_u32 s13, 0, s13                                     // 0000000079E4: 820D0D80
	s_add_u32 s16, s79, s16                                    // 0000000079E8: 8010104F
	s_addc_u32 s17, 0, s17                                     // 0000000079EC: 82111180
	v_mov_b32_e32 v46, v27                                     // 0000000079F0: 7E5C031B
	v_mov_b32_e32 v47, v27                                     // 0000000079F4: 7E5E031B
	v_pk_mul_f32 v[112:113], v[46:47], v[112:113]              // 0000000079F8: D3B14070 1802E12E
	v_pk_mul_f32 v[114:115], v[46:47], v[114:115]              // 000000007A00: D3B14072 1802E52E
	v_pk_mul_f32 v[116:117], v[46:47], v[116:117]              // 000000007A08: D3B14074 1802E92E
	v_pk_mul_f32 v[118:119], v[46:47], v[118:119]              // 000000007A10: D3B14076 1802ED2E
	v_pk_mul_f32 v[120:121], v[46:47], v[120:121]              // 000000007A18: D3B14078 1802F12E
	v_pk_mul_f32 v[122:123], v[46:47], v[122:123]              // 000000007A20: D3B1407A 1802F52E
	v_pk_mul_f32 v[124:125], v[46:47], v[124:125]              // 000000007A28: D3B1407C 1802F92E
	v_pk_mul_f32 v[126:127], v[46:47], v[126:127]              // 000000007A30: D3B1407E 1802FD2E
	v_cvt_pk_bf16_f32 v112, v112, v113                         // 000000007A38: D2680070 0002E370
	v_cvt_pk_bf16_f32 v113, v114, v115                         // 000000007A40: D2680071 0002E772
	v_cvt_pk_bf16_f32 v114, v116, v117                         // 000000007A48: D2680072 0002EB74
	v_cvt_pk_bf16_f32 v115, v118, v119                         // 000000007A50: D2680073 0002EF76
	v_cvt_pk_bf16_f32 v116, v120, v121                         // 000000007A58: D2680074 0002F378
	v_cvt_pk_bf16_f32 v117, v122, v123                         // 000000007A60: D2680075 0002F77A
	v_cvt_pk_bf16_f32 v118, v124, v125                         // 000000007A68: D2680076 0002FB7C
	v_cvt_pk_bf16_f32 v119, v126, v127                         // 000000007A70: D2680077 0002FF7E
	s_cmp_ge_u32 s80, 0x200                                    // 000000007A78: BF09FF50 00000200
	s_cselect_b32 s59, 0x200, s59                              // 000000007A80: 853B3BFF 00000200
	s_waitcnt lgkmcnt(0)                                       // 000000007A88: BF8CC07F
	s_barrier                                                  // 000000007A8C: BF8A0000
	s_setvskip s20, 0                                          // 000000007A90: BF108014
	global_atomic_pk_add_bf16 v80, v64, s[8:9]                 // 000000007A94: DD488000 00084050
	s_setvskip 0, 0                                            // 000000007A9C: BF108080
	s_setvskip s20, 0                                          // 000000007AA0: BF108014
	global_atomic_pk_add_bf16 v80, v65, s[8:9] offset:256      // 000000007AA4: DD488100 00084150
	s_setvskip 0, 0                                            // 000000007AAC: BF108080
	s_setvskip s20, 1                                          // 000000007AB0: BF108114
	global_atomic_pk_add_bf16 v82, v66, s[8:9]                 // 000000007AB4: DD488000 00084252
	s_setvskip 0, 0                                            // 000000007ABC: BF108080
	s_setvskip s20, 1                                          // 000000007AC0: BF108114
	global_atomic_pk_add_bf16 v82, v67, s[8:9] offset:256      // 000000007AC4: DD488100 00084352
	s_setvskip 0, 0                                            // 000000007ACC: BF108080
	s_setvskip s20, 2                                          // 000000007AD0: BF108214
	global_atomic_pk_add_bf16 v84, v68, s[8:9]                 // 000000007AD4: DD488000 00084454
	s_setvskip 0, 0                                            // 000000007ADC: BF108080
	s_setvskip s20, 2                                          // 000000007AE0: BF108214
	global_atomic_pk_add_bf16 v84, v69, s[8:9] offset:256      // 000000007AE4: DD488100 00084554
	s_setvskip 0, 0                                            // 000000007AEC: BF108080
	s_setvskip s20, 3                                          // 000000007AF0: BF108314
	global_atomic_pk_add_bf16 v86, v70, s[8:9]                 // 000000007AF4: DD488000 00084656
	s_setvskip 0, 0                                            // 000000007AFC: BF108080
	s_setvskip s20, 3                                          // 000000007B00: BF108314
	global_atomic_pk_add_bf16 v86, v71, s[8:9] offset:256      // 000000007B04: DD488100 00084756
	s_setvskip 0, 0                                            // 000000007B0C: BF108080
	s_add_u32 s8, s59, s8                                      // 000000007B10: 8008083B
	s_addc_u32 s9, 0, s9                                       // 000000007B14: 82090980
	s_addk_i32 s80, 0x100                                      // 000000007B18: B7500100
	s_cmp_lt_i32 s80, s81                                      // 000000007B1C: BF045150
	s_cbranch_scc0 label_0B8D                                  // 000000007B20: BF84F844
	s_waitcnt vmcnt(13) lgkmcnt(0)                             // 000000007B24: BF8C007D
	s_barrier                                                  // 000000007B28: BF8A0000
	v_mfma_f32_16x16x128_f8f6f4 v[128:131], a[64:71], v[96:103], 0// 000000007B2C: D3AD0080 0A02C140
	buffer_load_dword v22, v6, s[16:19], 0 offen               // 000000007B34: E0501000 80041606
	buffer_load_dwordx4 a[32:35], v38, s[12:15], 0 offen       // 000000007B3C: E05C1000 80832026
	buffer_load_dwordx4 a[36:39], v38, s[12:15], 0 offen offset:1024// 000000007B44: E05C1400 80832426
	buffer_load_dwordx4 a[40:43], v39, s[12:15], 0 offen       // 000000007B4C: E05C1000 80832827
	buffer_load_dwordx4 a[44:47], v39, s[12:15], 0 offen offset:1024// 000000007B54: E05C1400 80832C27
	v_mfma_f32_16x16x128_f8f6f4 v[132:135], a[72:79], v[96:103], 0// 000000007B5C: D3AD0084 0A02C148
	ds_read_b32 v64, v5 offset:34560                           // 000000007B64: D86C8700 40000005
	ds_read_b32 v65, v5 offset:38912                           // 000000007B6C: D86C9800 41000005
	ds_read_b32 v66, v5 offset:34568                           // 000000007B74: D86C8708 42000005
	ds_read_b32 v67, v5 offset:38920                           // 000000007B7C: D86C9808 43000005
	ds_read_b32 v68, v5 offset:34592                           // 000000007B84: D86C8720 44000005
	ds_read_b32 v69, v5 offset:38944                           // 000000007B8C: D86C9820 45000005
	ds_read_b32 v70, v5 offset:34600                           // 000000007B94: D86C8728 46000005
	ds_read_b32 v71, v5 offset:38952                           // 000000007B9C: D86C9828 47000005
	s_waitcnt vmcnt(13)                                        // 000000007BA4: BF8C0F7D
	v_mfma_f32_16x16x128_f8f6f4 v[136:139], a[80:87], v[96:103], 0// 000000007BA8: D3AD0088 0A02C150
	buffer_load_dwordx4 a[48:51], v40, s[12:15], 0 offen       // 000000007BB0: E05C1000 80833028
	buffer_load_dwordx4 a[52:55], v40, s[12:15], 0 offen offset:1024// 000000007BB8: E05C1400 80833428
	buffer_load_dwordx4 a[56:59], v41, s[12:15], 0 offen       // 000000007BC0: E05C1000 80833829
	buffer_load_dwordx4 a[60:63], v41, s[12:15], 0 offen offset:1024// 000000007BC8: E05C1400 80833C29
	v_mfma_f32_16x16x128_f8f6f4 v[140:143], a[88:95], v[96:103], 0// 000000007BD0: D3AD008C 0A02C158
	ds_write_b64 v4, v[112:113] offset:17152                   // 000000007BD8: D89A4300 00007004
	ds_write_b64 v4, v[114:115] offset:19328                   // 000000007BE0: D89A4B80 00007204
	ds_write_b64 v4, v[116:117] offset:21504                   // 000000007BE8: D89A5400 00007404
	ds_write_b64 v4, v[118:119] offset:23680                   // 000000007BF0: D89A5C80 00007604
	v_mul_f32_dpp v46, v23, v32 row_newbcast:0 row_mask:0xf bank_mask:0xf// 000000007BF8: 0A5C40FA FF015017
	v_mov_b32_e32 v47, v46                                     // 000000007C00: 7E5E032E
	v_pk_mul_f32 v[128:129], v[46:47], v[128:129]              // 000000007C04: D3B14080 1803012E
	v_pk_mul_f32 v[130:131], v[46:47], v[130:131]              // 000000007C0C: D3B14082 1803052E
	v_pk_mul_f32 v[132:133], v[46:47], v[132:133]              // 000000007C14: D3B14084 1803092E
	v_pk_mul_f32 v[134:135], v[46:47], v[134:135]              // 000000007C1C: D3B14086 18030D2E
	v_mul_f32_dpp v46, v23, v32 row_newbcast:1 row_mask:0xf bank_mask:0xf// 000000007C24: 0A5C40FA FF015117
	v_mov_b32_e32 v47, v46                                     // 000000007C2C: 7E5E032E
	v_pk_mul_f32 v[136:137], v[46:47], v[136:137]              // 000000007C30: D3B14088 1803112E
	v_pk_mul_f32 v[138:139], v[46:47], v[138:139]              // 000000007C38: D3B1408A 1803152E
	v_pk_mul_f32 v[140:141], v[46:47], v[140:141]              // 000000007C40: D3B1408C 1803192E
	v_pk_mul_f32 v[142:143], v[46:47], v[142:143]              // 000000007C48: D3B1408E 18031D2E
	s_add_u32 s60, 0x300, s80                                  // 000000007C50: 803C50FF 00000300
	s_cmp_lt_u32 s60, s81                                      // 000000007C58: BF0A513C
	s_cselect_b32 s56, s56, 0                                  // 000000007C5C: 85388038
	s_cselect_b32 s78, s78, 0                                  // 000000007C60: 854E804E
	s_cselect_b32 s79, s79, 0                                  // 000000007C64: 854F804F
	s_add_u32 s12, s56, s12                                    // 000000007C68: 800C0C38
	s_addc_u32 s13, 0, s13                                     // 000000007C6C: 820D0D80
	s_add_u32 s16, s79, s16                                    // 000000007C70: 8010104F
	s_addc_u32 s17, 0, s17                                     // 000000007C74: 82111180
	v_mov_b32_e32 v46, v27                                     // 000000007C78: 7E5C031B
	v_mov_b32_e32 v47, v27                                     // 000000007C7C: 7E5E031B
	v_pk_mul_f32 v[128:129], v[46:47], v[128:129]              // 000000007C80: D3B14080 1803012E
	v_pk_mul_f32 v[130:131], v[46:47], v[130:131]              // 000000007C88: D3B14082 1803052E
	v_pk_mul_f32 v[132:133], v[46:47], v[132:133]              // 000000007C90: D3B14084 1803092E
	v_pk_mul_f32 v[134:135], v[46:47], v[134:135]              // 000000007C98: D3B14086 18030D2E
	v_pk_mul_f32 v[136:137], v[46:47], v[136:137]              // 000000007CA0: D3B14088 1803112E
	v_pk_mul_f32 v[138:139], v[46:47], v[138:139]              // 000000007CA8: D3B1408A 1803152E
	v_pk_mul_f32 v[140:141], v[46:47], v[140:141]              // 000000007CB0: D3B1408C 1803192E
	v_pk_mul_f32 v[142:143], v[46:47], v[142:143]              // 000000007CB8: D3B1408E 18031D2E
	v_cvt_pk_bf16_f32 v128, v128, v129                         // 000000007CC0: D2680080 00030380
	v_cvt_pk_bf16_f32 v129, v130, v131                         // 000000007CC8: D2680081 00030782
	v_cvt_pk_bf16_f32 v130, v132, v133                         // 000000007CD0: D2680082 00030B84
	v_cvt_pk_bf16_f32 v131, v134, v135                         // 000000007CD8: D2680083 00030F86
	v_cvt_pk_bf16_f32 v132, v136, v137                         // 000000007CE0: D2680084 00031388
	v_cvt_pk_bf16_f32 v133, v138, v139                         // 000000007CE8: D2680085 0003178A
	v_cvt_pk_bf16_f32 v134, v140, v141                         // 000000007CF0: D2680086 00031B8C
	v_cvt_pk_bf16_f32 v135, v142, v143                         // 000000007CF8: D2680087 00031F8E
	s_cmp_ge_u32 s80, 0x200                                    // 000000007D00: BF09FF50 00000200
	s_cselect_b32 s59, 0x200, s59                              // 000000007D08: 853B3BFF 00000200
	s_waitcnt lgkmcnt(0)                                       // 000000007D10: BF8CC07F
	s_barrier                                                  // 000000007D14: BF8A0000
	s_setvskip s20, 0                                          // 000000007D18: BF108014
	global_atomic_pk_add_bf16 v80, v64, s[8:9]                 // 000000007D1C: DD488000 00084050
	s_setvskip 0, 0                                            // 000000007D24: BF108080
	s_setvskip s20, 0                                          // 000000007D28: BF108014
	global_atomic_pk_add_bf16 v80, v65, s[8:9] offset:256      // 000000007D2C: DD488100 00084150
	s_setvskip 0, 0                                            // 000000007D34: BF108080
	s_setvskip s20, 1                                          // 000000007D38: BF108114
	global_atomic_pk_add_bf16 v82, v66, s[8:9]                 // 000000007D3C: DD488000 00084252
	s_setvskip 0, 0                                            // 000000007D44: BF108080
	s_setvskip s20, 1                                          // 000000007D48: BF108114
	global_atomic_pk_add_bf16 v82, v67, s[8:9] offset:256      // 000000007D4C: DD488100 00084352
	s_setvskip 0, 0                                            // 000000007D54: BF108080
	s_setvskip s20, 2                                          // 000000007D58: BF108214
	global_atomic_pk_add_bf16 v84, v68, s[8:9]                 // 000000007D5C: DD488000 00084454
	s_setvskip 0, 0                                            // 000000007D64: BF108080
	s_setvskip s20, 2                                          // 000000007D68: BF108214
	global_atomic_pk_add_bf16 v84, v69, s[8:9] offset:256      // 000000007D6C: DD488100 00084554
	s_setvskip 0, 0                                            // 000000007D74: BF108080
	s_setvskip s20, 3                                          // 000000007D78: BF108314
	global_atomic_pk_add_bf16 v86, v70, s[8:9]                 // 000000007D7C: DD488000 00084656
	s_setvskip 0, 0                                            // 000000007D84: BF108080
	s_setvskip s20, 3                                          // 000000007D88: BF108314
	global_atomic_pk_add_bf16 v86, v71, s[8:9] offset:256      // 000000007D8C: DD488100 00084756
	s_setvskip 0, 0                                            // 000000007D94: BF108080
	s_add_u32 s8, s59, s8                                      // 000000007D98: 8008083B
	s_addc_u32 s9, 0, s9                                       // 000000007D9C: 82090980
	s_addk_i32 s80, 0x100                                      // 000000007DA0: B7500100
	s_cmp_lt_i32 s80, s81                                      // 000000007DA4: BF045150
	s_cbranch_scc0 label_0B8D                                  // 000000007DA8: BF84F7A2
	s_branch label_101F                                        // 000000007DAC: BF82FC33

0000000000007db0 <label_13EC>:
	s_cmp_ge_u32 s59, 0                                        // 000000007DB0: BF09803B
	s_cselect_b32 s59, 0x200, s59                              // 000000007DB4: 853B3BFF 00000200
	s_waitcnt lgkmcnt(0)                                       // 000000007DBC: BF8CC07F
	s_barrier                                                  // 000000007DC0: BF8A0000
	s_cmp_eq_u32 s64, 0x100                                    // 000000007DC4: BF06FF40 00000100
	s_cbranch_scc0 label_1430                                  // 000000007DCC: BF84003C
	ds_write_b64 v4, v[112:113] offset:17152                   // 000000007DD0: D89A4300 00007004
	ds_write_b64 v4, v[114:115] offset:19328                   // 000000007DD8: D89A4B80 00007204
	ds_write_b64 v4, v[116:117] offset:21504                   // 000000007DE0: D89A5400 00007404
	ds_write_b64 v4, v[118:119] offset:23680                   // 000000007DE8: D89A5C80 00007604
	s_waitcnt lgkmcnt(0)                                       // 000000007DF0: BF8CC07F
	s_barrier                                                  // 000000007DF4: BF8A0000
	ds_read_b32 v64, v5 offset:17152                           // 000000007DF8: D86C4300 40000005
	ds_read_b32 v65, v5 offset:21504                           // 000000007E00: D86C5400 41000005
	ds_read_b32 v66, v5 offset:17160                           // 000000007E08: D86C4308 42000005
	ds_read_b32 v67, v5 offset:21512                           // 000000007E10: D86C5408 43000005
	ds_read_b32 v68, v5 offset:17184                           // 000000007E18: D86C4320 44000005
	ds_read_b32 v69, v5 offset:21536                           // 000000007E20: D86C5420 45000005
	ds_read_b32 v70, v5 offset:17192                           // 000000007E28: D86C4328 46000005
	ds_read_b32 v71, v5 offset:21544                           // 000000007E30: D86C5428 47000005
	s_waitcnt lgkmcnt(0)                                       // 000000007E38: BF8CC07F
	s_setvskip s20, 0                                          // 000000007E3C: BF108014
	global_atomic_pk_add_bf16 v80, v64, s[8:9]                 // 000000007E40: DD488000 00084050
	s_setvskip 0, 0                                            // 000000007E48: BF108080
	s_setvskip s20, 0                                          // 000000007E4C: BF108014
	global_atomic_pk_add_bf16 v80, v65, s[8:9] offset:256      // 000000007E50: DD488100 00084150
	s_setvskip 0, 0                                            // 000000007E58: BF108080
	s_setvskip s20, 1                                          // 000000007E5C: BF108114
	global_atomic_pk_add_bf16 v82, v66, s[8:9]                 // 000000007E60: DD488000 00084252
	s_setvskip 0, 0                                            // 000000007E68: BF108080
	s_setvskip s20, 1                                          // 000000007E6C: BF108114
	global_atomic_pk_add_bf16 v82, v67, s[8:9] offset:256      // 000000007E70: DD488100 00084352
	s_setvskip 0, 0                                            // 000000007E78: BF108080
	s_setvskip s20, 2                                          // 000000007E7C: BF108214
	global_atomic_pk_add_bf16 v84, v68, s[8:9]                 // 000000007E80: DD488000 00084454
	s_setvskip 0, 0                                            // 000000007E88: BF108080
	s_setvskip s20, 2                                          // 000000007E8C: BF108214
	global_atomic_pk_add_bf16 v84, v69, s[8:9] offset:256      // 000000007E90: DD488100 00084554
	s_setvskip 0, 0                                            // 000000007E98: BF108080
	s_setvskip s20, 3                                          // 000000007E9C: BF108314
	global_atomic_pk_add_bf16 v86, v70, s[8:9]                 // 000000007EA0: DD488000 00084656
	s_setvskip 0, 0                                            // 000000007EA8: BF108080
	s_setvskip s20, 3                                          // 000000007EAC: BF108314
	global_atomic_pk_add_bf16 v86, v71, s[8:9] offset:256      // 000000007EB0: DD488100 00084756
	s_setvskip 0, 0                                            // 000000007EB8: BF108080
	s_branch label_149E                                        // 000000007EBC: BF82006E

0000000000007ec0 <label_1430>:
	ds_read_b32 v64, v5 offset:17152                           // 000000007EC0: D86C4300 40000005
	ds_read_b32 v65, v5 offset:21504                           // 000000007EC8: D86C5400 41000005
	ds_read_b32 v66, v5 offset:17160                           // 000000007ED0: D86C4308 42000005
	ds_read_b32 v67, v5 offset:21512                           // 000000007ED8: D86C5408 43000005
	ds_read_b32 v68, v5 offset:17184                           // 000000007EE0: D86C4320 44000005
	ds_read_b32 v69, v5 offset:21536                           // 000000007EE8: D86C5420 45000005
	ds_read_b32 v70, v5 offset:17192                           // 000000007EF0: D86C4328 46000005
	ds_read_b32 v71, v5 offset:21544                           // 000000007EF8: D86C5428 47000005
	s_waitcnt lgkmcnt(0)                                       // 000000007F00: BF8CC07F
	s_setvskip s20, 0                                          // 000000007F04: BF108014
	global_atomic_pk_add_bf16 v80, v64, s[8:9]                 // 000000007F08: DD488000 00084050
	s_setvskip 0, 0                                            // 000000007F10: BF108080
	s_setvskip s20, 0                                          // 000000007F14: BF108014
	global_atomic_pk_add_bf16 v80, v65, s[8:9] offset:256      // 000000007F18: DD488100 00084150
	s_setvskip 0, 0                                            // 000000007F20: BF108080
	s_setvskip s20, 1                                          // 000000007F24: BF108114
	global_atomic_pk_add_bf16 v82, v66, s[8:9]                 // 000000007F28: DD488000 00084252
	s_setvskip 0, 0                                            // 000000007F30: BF108080
	s_setvskip s20, 1                                          // 000000007F34: BF108114
	global_atomic_pk_add_bf16 v82, v67, s[8:9] offset:256      // 000000007F38: DD488100 00084352
	s_setvskip 0, 0                                            // 000000007F40: BF108080
	s_setvskip s20, 2                                          // 000000007F44: BF108214
	global_atomic_pk_add_bf16 v84, v68, s[8:9]                 // 000000007F48: DD488000 00084454
	s_setvskip 0, 0                                            // 000000007F50: BF108080
	s_setvskip s20, 2                                          // 000000007F54: BF108214
	global_atomic_pk_add_bf16 v84, v69, s[8:9] offset:256      // 000000007F58: DD488100 00084554
	s_setvskip 0, 0                                            // 000000007F60: BF108080
	s_setvskip s20, 3                                          // 000000007F64: BF108314
	global_atomic_pk_add_bf16 v86, v70, s[8:9]                 // 000000007F68: DD488000 00084656
	s_setvskip 0, 0                                            // 000000007F70: BF108080
	s_setvskip s20, 3                                          // 000000007F74: BF108314
	global_atomic_pk_add_bf16 v86, v71, s[8:9] offset:256      // 000000007F78: DD488100 00084756
	s_setvskip 0, 0                                            // 000000007F80: BF108080
	s_add_u32 s8, s59, s8                                      // 000000007F84: 8008083B
	s_addc_u32 s9, 0, s9                                       // 000000007F88: 82090980
	ds_write_b64 v4, v[128:129] offset:34560                   // 000000007F8C: D89A8700 00008004
	ds_write_b64 v4, v[130:131] offset:36736                   // 000000007F94: D89A8F80 00008204
	ds_write_b64 v4, v[132:133] offset:38912                   // 000000007F9C: D89A9800 00008404
	ds_write_b64 v4, v[134:135] offset:41088                   // 000000007FA4: D89AA080 00008604
	s_waitcnt lgkmcnt(0)                                       // 000000007FAC: BF8CC07F
	s_barrier                                                  // 000000007FB0: BF8A0000
	ds_read_b32 v64, v5 offset:34560                           // 000000007FB4: D86C8700 40000005
	ds_read_b32 v65, v5 offset:38912                           // 000000007FBC: D86C9800 41000005
	ds_read_b32 v66, v5 offset:34568                           // 000000007FC4: D86C8708 42000005
	ds_read_b32 v67, v5 offset:38920                           // 000000007FCC: D86C9808 43000005
	ds_read_b32 v68, v5 offset:34592                           // 000000007FD4: D86C8720 44000005
	ds_read_b32 v69, v5 offset:38944                           // 000000007FDC: D86C9820 45000005
	ds_read_b32 v70, v5 offset:34600                           // 000000007FE4: D86C8728 46000005
	ds_read_b32 v71, v5 offset:38952                           // 000000007FEC: D86C9828 47000005
	s_waitcnt lgkmcnt(0)                                       // 000000007FF4: BF8CC07F
	s_setvskip s20, 0                                          // 000000007FF8: BF108014
	global_atomic_pk_add_bf16 v80, v64, s[8:9]                 // 000000007FFC: DD488000 00084050
	s_setvskip 0, 0                                            // 000000008004: BF108080
	s_setvskip s20, 0                                          // 000000008008: BF108014
	global_atomic_pk_add_bf16 v80, v65, s[8:9] offset:256      // 00000000800C: DD488100 00084150
	s_setvskip 0, 0                                            // 000000008014: BF108080
	s_setvskip s20, 1                                          // 000000008018: BF108114
	global_atomic_pk_add_bf16 v82, v66, s[8:9]                 // 00000000801C: DD488000 00084252
	s_setvskip 0, 0                                            // 000000008024: BF108080
	s_setvskip s20, 1                                          // 000000008028: BF108114
	global_atomic_pk_add_bf16 v82, v67, s[8:9] offset:256      // 00000000802C: DD488100 00084352
	s_setvskip 0, 0                                            // 000000008034: BF108080
	s_setvskip s20, 2                                          // 000000008038: BF108214
	global_atomic_pk_add_bf16 v84, v68, s[8:9]                 // 00000000803C: DD488000 00084454
	s_setvskip 0, 0                                            // 000000008044: BF108080
	s_setvskip s20, 2                                          // 000000008048: BF108214
	global_atomic_pk_add_bf16 v84, v69, s[8:9] offset:256      // 00000000804C: DD488100 00084554
	s_setvskip 0, 0                                            // 000000008054: BF108080
	s_setvskip s20, 3                                          // 000000008058: BF108314
	global_atomic_pk_add_bf16 v86, v70, s[8:9]                 // 00000000805C: DD488000 00084656
	s_setvskip 0, 0                                            // 000000008064: BF108080
	s_setvskip s20, 3                                          // 000000008068: BF108314
	global_atomic_pk_add_bf16 v86, v71, s[8:9] offset:256      // 00000000806C: DD488100 00084756
	s_setvskip 0, 0                                            // 000000008074: BF108080

0000000000008078 <label_149E>:
	s_waitcnt vmcnt(0) expcnt(0) lgkmcnt(0)                    // 000000008078: BF8C0000
	s_endpgm                                                   // 00000000807C: BF810000
